;; amdgpu-corpus repo=ROCm/rocPRIM kind=compiled arch=gfx942 opt=O3
	.text
	.amdgcn_target "amdgcn-amd-amdhsa--gfx942"
	.amdhsa_code_object_version 6
	.section	.text._Z20warp_exchange_kernelILj256ELj1ELj16EN6common18BlockedToStripedOpEiEvPT3_j,"axG",@progbits,_Z20warp_exchange_kernelILj256ELj1ELj16EN6common18BlockedToStripedOpEiEvPT3_j,comdat
	.protected	_Z20warp_exchange_kernelILj256ELj1ELj16EN6common18BlockedToStripedOpEiEvPT3_j ; -- Begin function _Z20warp_exchange_kernelILj256ELj1ELj16EN6common18BlockedToStripedOpEiEvPT3_j
	.globl	_Z20warp_exchange_kernelILj256ELj1ELj16EN6common18BlockedToStripedOpEiEvPT3_j
	.p2align	8
	.type	_Z20warp_exchange_kernelILj256ELj1ELj16EN6common18BlockedToStripedOpEiEvPT3_j,@function
_Z20warp_exchange_kernelILj256ELj1ELj16EN6common18BlockedToStripedOpEiEvPT3_j: ; @_Z20warp_exchange_kernelILj256ELj1ELj16EN6common18BlockedToStripedOpEiEvPT3_j
; %bb.0:
	s_load_dword s3, s[0:1], 0x8
	s_waitcnt lgkmcnt(0)
	s_cmp_eq_u32 s3, 0
	s_cbranch_scc1 .LBB0_3
; %bb.1:
	v_mbcnt_lo_u32_b32 v2, -1, 0
	v_mbcnt_hi_u32_b32 v2, -1, v2
	v_and_b32_e32 v2, 15, v2
	v_lshlrev_b32_e32 v1, 2, v0
	v_lshlrev_b32_e32 v2, 2, v2
	s_movk_i32 s4, 0x3c0
	v_and_or_b32 v2, v1, s4, v2
	v_mov_b32_e32 v1, v0
.LBB0_2:                                ; =>This Inner Loop Header: Depth=1
	s_waitcnt lgkmcnt(0)
	ds_write_b32 v2, v1
	; wave barrier
	ds_read_b32 v1, v2
	s_add_i32 s3, s3, -1
	s_cmp_lg_u32 s3, 0
	; wave barrier
	s_cbranch_scc1 .LBB0_2
	s_branch .LBB0_4
.LBB0_3:
	v_mov_b32_e32 v1, v0
.LBB0_4:
	s_load_dwordx2 s[0:1], s[0:1], 0x0
	v_lshl_or_b32 v2, s2, 8, v0
	v_mov_b32_e32 v3, 0
	s_waitcnt lgkmcnt(0)
	v_lshl_add_u64 v[2:3], v[2:3], 2, s[0:1]
	global_store_dword v[2:3], v1, off
	s_endpgm
	.section	.rodata,"a",@progbits
	.p2align	6, 0x0
	.amdhsa_kernel _Z20warp_exchange_kernelILj256ELj1ELj16EN6common18BlockedToStripedOpEiEvPT3_j
		.amdhsa_group_segment_fixed_size 1024
		.amdhsa_private_segment_fixed_size 0
		.amdhsa_kernarg_size 12
		.amdhsa_user_sgpr_count 2
		.amdhsa_user_sgpr_dispatch_ptr 0
		.amdhsa_user_sgpr_queue_ptr 0
		.amdhsa_user_sgpr_kernarg_segment_ptr 1
		.amdhsa_user_sgpr_dispatch_id 0
		.amdhsa_user_sgpr_kernarg_preload_length 0
		.amdhsa_user_sgpr_kernarg_preload_offset 0
		.amdhsa_user_sgpr_private_segment_size 0
		.amdhsa_uses_dynamic_stack 0
		.amdhsa_enable_private_segment 0
		.amdhsa_system_sgpr_workgroup_id_x 1
		.amdhsa_system_sgpr_workgroup_id_y 0
		.amdhsa_system_sgpr_workgroup_id_z 0
		.amdhsa_system_sgpr_workgroup_info 0
		.amdhsa_system_vgpr_workitem_id 0
		.amdhsa_next_free_vgpr 4
		.amdhsa_next_free_sgpr 5
		.amdhsa_accum_offset 4
		.amdhsa_reserve_vcc 0
		.amdhsa_float_round_mode_32 0
		.amdhsa_float_round_mode_16_64 0
		.amdhsa_float_denorm_mode_32 3
		.amdhsa_float_denorm_mode_16_64 3
		.amdhsa_dx10_clamp 1
		.amdhsa_ieee_mode 1
		.amdhsa_fp16_overflow 0
		.amdhsa_tg_split 0
		.amdhsa_exception_fp_ieee_invalid_op 0
		.amdhsa_exception_fp_denorm_src 0
		.amdhsa_exception_fp_ieee_div_zero 0
		.amdhsa_exception_fp_ieee_overflow 0
		.amdhsa_exception_fp_ieee_underflow 0
		.amdhsa_exception_fp_ieee_inexact 0
		.amdhsa_exception_int_div_zero 0
	.end_amdhsa_kernel
	.section	.text._Z20warp_exchange_kernelILj256ELj1ELj16EN6common18BlockedToStripedOpEiEvPT3_j,"axG",@progbits,_Z20warp_exchange_kernelILj256ELj1ELj16EN6common18BlockedToStripedOpEiEvPT3_j,comdat
.Lfunc_end0:
	.size	_Z20warp_exchange_kernelILj256ELj1ELj16EN6common18BlockedToStripedOpEiEvPT3_j, .Lfunc_end0-_Z20warp_exchange_kernelILj256ELj1ELj16EN6common18BlockedToStripedOpEiEvPT3_j
                                        ; -- End function
	.section	.AMDGPU.csdata,"",@progbits
; Kernel info:
; codeLenInByte = 148
; NumSgprs: 11
; NumVgprs: 4
; NumAgprs: 0
; TotalNumVgprs: 4
; ScratchSize: 0
; MemoryBound: 0
; FloatMode: 240
; IeeeMode: 1
; LDSByteSize: 1024 bytes/workgroup (compile time only)
; SGPRBlocks: 1
; VGPRBlocks: 0
; NumSGPRsForWavesPerEU: 11
; NumVGPRsForWavesPerEU: 4
; AccumOffset: 4
; Occupancy: 8
; WaveLimiterHint : 0
; COMPUTE_PGM_RSRC2:SCRATCH_EN: 0
; COMPUTE_PGM_RSRC2:USER_SGPR: 2
; COMPUTE_PGM_RSRC2:TRAP_HANDLER: 0
; COMPUTE_PGM_RSRC2:TGID_X_EN: 1
; COMPUTE_PGM_RSRC2:TGID_Y_EN: 0
; COMPUTE_PGM_RSRC2:TGID_Z_EN: 0
; COMPUTE_PGM_RSRC2:TIDIG_COMP_CNT: 0
; COMPUTE_PGM_RSRC3_GFX90A:ACCUM_OFFSET: 0
; COMPUTE_PGM_RSRC3_GFX90A:TG_SPLIT: 0
	.section	.text._Z20warp_exchange_kernelILj256ELj1ELj32EN6common18BlockedToStripedOpEiEvPT3_j,"axG",@progbits,_Z20warp_exchange_kernelILj256ELj1ELj32EN6common18BlockedToStripedOpEiEvPT3_j,comdat
	.protected	_Z20warp_exchange_kernelILj256ELj1ELj32EN6common18BlockedToStripedOpEiEvPT3_j ; -- Begin function _Z20warp_exchange_kernelILj256ELj1ELj32EN6common18BlockedToStripedOpEiEvPT3_j
	.globl	_Z20warp_exchange_kernelILj256ELj1ELj32EN6common18BlockedToStripedOpEiEvPT3_j
	.p2align	8
	.type	_Z20warp_exchange_kernelILj256ELj1ELj32EN6common18BlockedToStripedOpEiEvPT3_j,@function
_Z20warp_exchange_kernelILj256ELj1ELj32EN6common18BlockedToStripedOpEiEvPT3_j: ; @_Z20warp_exchange_kernelILj256ELj1ELj32EN6common18BlockedToStripedOpEiEvPT3_j
; %bb.0:
	s_load_dword s3, s[0:1], 0x8
	s_waitcnt lgkmcnt(0)
	s_cmp_eq_u32 s3, 0
	s_cbranch_scc1 .LBB1_3
; %bb.1:
	v_mbcnt_lo_u32_b32 v2, -1, 0
	v_mbcnt_hi_u32_b32 v2, -1, v2
	v_and_b32_e32 v2, 31, v2
	v_lshlrev_b32_e32 v1, 2, v0
	v_lshlrev_b32_e32 v2, 2, v2
	s_movk_i32 s4, 0x380
	v_and_or_b32 v2, v1, s4, v2
	v_mov_b32_e32 v1, v0
.LBB1_2:                                ; =>This Inner Loop Header: Depth=1
	s_waitcnt lgkmcnt(0)
	ds_write_b32 v2, v1
	; wave barrier
	ds_read_b32 v1, v2
	s_add_i32 s3, s3, -1
	s_cmp_lg_u32 s3, 0
	; wave barrier
	s_cbranch_scc1 .LBB1_2
	s_branch .LBB1_4
.LBB1_3:
	v_mov_b32_e32 v1, v0
.LBB1_4:
	s_load_dwordx2 s[0:1], s[0:1], 0x0
	v_lshl_or_b32 v2, s2, 8, v0
	v_mov_b32_e32 v3, 0
	s_waitcnt lgkmcnt(0)
	v_lshl_add_u64 v[2:3], v[2:3], 2, s[0:1]
	global_store_dword v[2:3], v1, off
	s_endpgm
	.section	.rodata,"a",@progbits
	.p2align	6, 0x0
	.amdhsa_kernel _Z20warp_exchange_kernelILj256ELj1ELj32EN6common18BlockedToStripedOpEiEvPT3_j
		.amdhsa_group_segment_fixed_size 1024
		.amdhsa_private_segment_fixed_size 0
		.amdhsa_kernarg_size 12
		.amdhsa_user_sgpr_count 2
		.amdhsa_user_sgpr_dispatch_ptr 0
		.amdhsa_user_sgpr_queue_ptr 0
		.amdhsa_user_sgpr_kernarg_segment_ptr 1
		.amdhsa_user_sgpr_dispatch_id 0
		.amdhsa_user_sgpr_kernarg_preload_length 0
		.amdhsa_user_sgpr_kernarg_preload_offset 0
		.amdhsa_user_sgpr_private_segment_size 0
		.amdhsa_uses_dynamic_stack 0
		.amdhsa_enable_private_segment 0
		.amdhsa_system_sgpr_workgroup_id_x 1
		.amdhsa_system_sgpr_workgroup_id_y 0
		.amdhsa_system_sgpr_workgroup_id_z 0
		.amdhsa_system_sgpr_workgroup_info 0
		.amdhsa_system_vgpr_workitem_id 0
		.amdhsa_next_free_vgpr 4
		.amdhsa_next_free_sgpr 5
		.amdhsa_accum_offset 4
		.amdhsa_reserve_vcc 0
		.amdhsa_float_round_mode_32 0
		.amdhsa_float_round_mode_16_64 0
		.amdhsa_float_denorm_mode_32 3
		.amdhsa_float_denorm_mode_16_64 3
		.amdhsa_dx10_clamp 1
		.amdhsa_ieee_mode 1
		.amdhsa_fp16_overflow 0
		.amdhsa_tg_split 0
		.amdhsa_exception_fp_ieee_invalid_op 0
		.amdhsa_exception_fp_denorm_src 0
		.amdhsa_exception_fp_ieee_div_zero 0
		.amdhsa_exception_fp_ieee_overflow 0
		.amdhsa_exception_fp_ieee_underflow 0
		.amdhsa_exception_fp_ieee_inexact 0
		.amdhsa_exception_int_div_zero 0
	.end_amdhsa_kernel
	.section	.text._Z20warp_exchange_kernelILj256ELj1ELj32EN6common18BlockedToStripedOpEiEvPT3_j,"axG",@progbits,_Z20warp_exchange_kernelILj256ELj1ELj32EN6common18BlockedToStripedOpEiEvPT3_j,comdat
.Lfunc_end1:
	.size	_Z20warp_exchange_kernelILj256ELj1ELj32EN6common18BlockedToStripedOpEiEvPT3_j, .Lfunc_end1-_Z20warp_exchange_kernelILj256ELj1ELj32EN6common18BlockedToStripedOpEiEvPT3_j
                                        ; -- End function
	.section	.AMDGPU.csdata,"",@progbits
; Kernel info:
; codeLenInByte = 148
; NumSgprs: 11
; NumVgprs: 4
; NumAgprs: 0
; TotalNumVgprs: 4
; ScratchSize: 0
; MemoryBound: 0
; FloatMode: 240
; IeeeMode: 1
; LDSByteSize: 1024 bytes/workgroup (compile time only)
; SGPRBlocks: 1
; VGPRBlocks: 0
; NumSGPRsForWavesPerEU: 11
; NumVGPRsForWavesPerEU: 4
; AccumOffset: 4
; Occupancy: 8
; WaveLimiterHint : 0
; COMPUTE_PGM_RSRC2:SCRATCH_EN: 0
; COMPUTE_PGM_RSRC2:USER_SGPR: 2
; COMPUTE_PGM_RSRC2:TRAP_HANDLER: 0
; COMPUTE_PGM_RSRC2:TGID_X_EN: 1
; COMPUTE_PGM_RSRC2:TGID_Y_EN: 0
; COMPUTE_PGM_RSRC2:TGID_Z_EN: 0
; COMPUTE_PGM_RSRC2:TIDIG_COMP_CNT: 0
; COMPUTE_PGM_RSRC3_GFX90A:ACCUM_OFFSET: 0
; COMPUTE_PGM_RSRC3_GFX90A:TG_SPLIT: 0
	.section	.text._Z20warp_exchange_kernelILj256ELj4ELj16EN6common18BlockedToStripedOpEiEvPT3_j,"axG",@progbits,_Z20warp_exchange_kernelILj256ELj4ELj16EN6common18BlockedToStripedOpEiEvPT3_j,comdat
	.protected	_Z20warp_exchange_kernelILj256ELj4ELj16EN6common18BlockedToStripedOpEiEvPT3_j ; -- Begin function _Z20warp_exchange_kernelILj256ELj4ELj16EN6common18BlockedToStripedOpEiEvPT3_j
	.globl	_Z20warp_exchange_kernelILj256ELj4ELj16EN6common18BlockedToStripedOpEiEvPT3_j
	.p2align	8
	.type	_Z20warp_exchange_kernelILj256ELj4ELj16EN6common18BlockedToStripedOpEiEvPT3_j,@function
_Z20warp_exchange_kernelILj256ELj4ELj16EN6common18BlockedToStripedOpEiEvPT3_j: ; @_Z20warp_exchange_kernelILj256ELj4ELj16EN6common18BlockedToStripedOpEiEvPT3_j
; %bb.0:
	s_load_dword s3, s[0:1], 0x8
	v_lshlrev_b32_e32 v2, 2, v0
	v_or_b32_e32 v5, 1, v2
	v_or_b32_e32 v6, 2, v2
	;; [unrolled: 1-line block ×3, first 2 shown]
	s_waitcnt lgkmcnt(0)
	s_cmp_eq_u32 s3, 0
	s_cbranch_scc1 .LBB2_3
; %bb.1:
	v_mbcnt_lo_u32_b32 v1, -1, 0
	v_mbcnt_hi_u32_b32 v1, -1, v1
	v_and_b32_e32 v1, 15, v1
	v_lshlrev_b32_e32 v0, 4, v0
	v_lshlrev_b32_e32 v3, 4, v1
	s_movk_i32 s4, 0xf00
	v_and_or_b32 v0, v0, s4, v3
	v_mul_i32_i24_e32 v1, -12, v1
	v_add_u32_e32 v1, v0, v1
	v_mov_b32_e32 v4, v2
.LBB2_2:                                ; =>This Inner Loop Header: Depth=1
	s_waitcnt lgkmcnt(0)
	ds_write_b128 v0, v[4:7]
	; wave barrier
	ds_read2_b32 v[4:5], v1 offset1:16
	ds_read2_b32 v[6:7], v1 offset0:32 offset1:48
	s_add_i32 s3, s3, -1
	s_cmp_lg_u32 s3, 0
	; wave barrier
	s_cbranch_scc1 .LBB2_2
	s_branch .LBB2_4
.LBB2_3:
	v_mov_b32_e32 v3, v5
	v_mov_b32_e32 v4, v6
	;; [unrolled: 1-line block ×3, first 2 shown]
	v_mov_b64_e32 v[6:7], v[4:5]
	v_mov_b64_e32 v[4:5], v[2:3]
.LBB2_4:
	s_load_dwordx2 s[0:1], s[0:1], 0x0
	v_lshl_or_b32 v0, s2, 10, v2
	v_mov_b32_e32 v1, 0
	s_waitcnt lgkmcnt(0)
	v_lshl_add_u64 v[0:1], v[0:1], 2, s[0:1]
	global_store_dwordx4 v[0:1], v[4:7], off
	s_endpgm
	.section	.rodata,"a",@progbits
	.p2align	6, 0x0
	.amdhsa_kernel _Z20warp_exchange_kernelILj256ELj4ELj16EN6common18BlockedToStripedOpEiEvPT3_j
		.amdhsa_group_segment_fixed_size 4096
		.amdhsa_private_segment_fixed_size 0
		.amdhsa_kernarg_size 12
		.amdhsa_user_sgpr_count 2
		.amdhsa_user_sgpr_dispatch_ptr 0
		.amdhsa_user_sgpr_queue_ptr 0
		.amdhsa_user_sgpr_kernarg_segment_ptr 1
		.amdhsa_user_sgpr_dispatch_id 0
		.amdhsa_user_sgpr_kernarg_preload_length 0
		.amdhsa_user_sgpr_kernarg_preload_offset 0
		.amdhsa_user_sgpr_private_segment_size 0
		.amdhsa_uses_dynamic_stack 0
		.amdhsa_enable_private_segment 0
		.amdhsa_system_sgpr_workgroup_id_x 1
		.amdhsa_system_sgpr_workgroup_id_y 0
		.amdhsa_system_sgpr_workgroup_id_z 0
		.amdhsa_system_sgpr_workgroup_info 0
		.amdhsa_system_vgpr_workitem_id 0
		.amdhsa_next_free_vgpr 8
		.amdhsa_next_free_sgpr 5
		.amdhsa_accum_offset 8
		.amdhsa_reserve_vcc 0
		.amdhsa_float_round_mode_32 0
		.amdhsa_float_round_mode_16_64 0
		.amdhsa_float_denorm_mode_32 3
		.amdhsa_float_denorm_mode_16_64 3
		.amdhsa_dx10_clamp 1
		.amdhsa_ieee_mode 1
		.amdhsa_fp16_overflow 0
		.amdhsa_tg_split 0
		.amdhsa_exception_fp_ieee_invalid_op 0
		.amdhsa_exception_fp_denorm_src 0
		.amdhsa_exception_fp_ieee_div_zero 0
		.amdhsa_exception_fp_ieee_overflow 0
		.amdhsa_exception_fp_ieee_underflow 0
		.amdhsa_exception_fp_ieee_inexact 0
		.amdhsa_exception_int_div_zero 0
	.end_amdhsa_kernel
	.section	.text._Z20warp_exchange_kernelILj256ELj4ELj16EN6common18BlockedToStripedOpEiEvPT3_j,"axG",@progbits,_Z20warp_exchange_kernelILj256ELj4ELj16EN6common18BlockedToStripedOpEiEvPT3_j,comdat
.Lfunc_end2:
	.size	_Z20warp_exchange_kernelILj256ELj4ELj16EN6common18BlockedToStripedOpEiEvPT3_j, .Lfunc_end2-_Z20warp_exchange_kernelILj256ELj4ELj16EN6common18BlockedToStripedOpEiEvPT3_j
                                        ; -- End function
	.section	.AMDGPU.csdata,"",@progbits
; Kernel info:
; codeLenInByte = 196
; NumSgprs: 11
; NumVgprs: 8
; NumAgprs: 0
; TotalNumVgprs: 8
; ScratchSize: 0
; MemoryBound: 0
; FloatMode: 240
; IeeeMode: 1
; LDSByteSize: 4096 bytes/workgroup (compile time only)
; SGPRBlocks: 1
; VGPRBlocks: 0
; NumSGPRsForWavesPerEU: 11
; NumVGPRsForWavesPerEU: 8
; AccumOffset: 8
; Occupancy: 8
; WaveLimiterHint : 0
; COMPUTE_PGM_RSRC2:SCRATCH_EN: 0
; COMPUTE_PGM_RSRC2:USER_SGPR: 2
; COMPUTE_PGM_RSRC2:TRAP_HANDLER: 0
; COMPUTE_PGM_RSRC2:TGID_X_EN: 1
; COMPUTE_PGM_RSRC2:TGID_Y_EN: 0
; COMPUTE_PGM_RSRC2:TGID_Z_EN: 0
; COMPUTE_PGM_RSRC2:TIDIG_COMP_CNT: 0
; COMPUTE_PGM_RSRC3_GFX90A:ACCUM_OFFSET: 1
; COMPUTE_PGM_RSRC3_GFX90A:TG_SPLIT: 0
	.section	.text._Z20warp_exchange_kernelILj256ELj4ELj32EN6common18BlockedToStripedOpEiEvPT3_j,"axG",@progbits,_Z20warp_exchange_kernelILj256ELj4ELj32EN6common18BlockedToStripedOpEiEvPT3_j,comdat
	.protected	_Z20warp_exchange_kernelILj256ELj4ELj32EN6common18BlockedToStripedOpEiEvPT3_j ; -- Begin function _Z20warp_exchange_kernelILj256ELj4ELj32EN6common18BlockedToStripedOpEiEvPT3_j
	.globl	_Z20warp_exchange_kernelILj256ELj4ELj32EN6common18BlockedToStripedOpEiEvPT3_j
	.p2align	8
	.type	_Z20warp_exchange_kernelILj256ELj4ELj32EN6common18BlockedToStripedOpEiEvPT3_j,@function
_Z20warp_exchange_kernelILj256ELj4ELj32EN6common18BlockedToStripedOpEiEvPT3_j: ; @_Z20warp_exchange_kernelILj256ELj4ELj32EN6common18BlockedToStripedOpEiEvPT3_j
; %bb.0:
	s_load_dword s3, s[0:1], 0x8
	v_lshlrev_b32_e32 v2, 2, v0
	v_or_b32_e32 v5, 1, v2
	v_or_b32_e32 v6, 2, v2
	;; [unrolled: 1-line block ×3, first 2 shown]
	s_waitcnt lgkmcnt(0)
	s_cmp_eq_u32 s3, 0
	s_cbranch_scc1 .LBB3_3
; %bb.1:
	v_mbcnt_lo_u32_b32 v1, -1, 0
	v_mbcnt_hi_u32_b32 v1, -1, v1
	v_and_b32_e32 v1, 31, v1
	v_lshlrev_b32_e32 v0, 4, v0
	v_lshlrev_b32_e32 v3, 4, v1
	s_movk_i32 s4, 0xe00
	v_and_or_b32 v0, v0, s4, v3
	v_mul_i32_i24_e32 v1, -12, v1
	v_add_u32_e32 v1, v0, v1
	v_mov_b32_e32 v4, v2
.LBB3_2:                                ; =>This Inner Loop Header: Depth=1
	s_waitcnt lgkmcnt(0)
	ds_write_b128 v0, v[4:7]
	; wave barrier
	ds_read2_b32 v[4:5], v1 offset1:32
	ds_read2_b32 v[6:7], v1 offset0:64 offset1:96
	s_add_i32 s3, s3, -1
	s_cmp_lg_u32 s3, 0
	; wave barrier
	s_cbranch_scc1 .LBB3_2
	s_branch .LBB3_4
.LBB3_3:
	v_mov_b32_e32 v3, v5
	v_mov_b32_e32 v4, v6
	v_mov_b32_e32 v5, v7
	v_mov_b64_e32 v[6:7], v[4:5]
	v_mov_b64_e32 v[4:5], v[2:3]
.LBB3_4:
	s_load_dwordx2 s[0:1], s[0:1], 0x0
	v_lshl_or_b32 v0, s2, 10, v2
	v_mov_b32_e32 v1, 0
	s_waitcnt lgkmcnt(0)
	v_lshl_add_u64 v[0:1], v[0:1], 2, s[0:1]
	global_store_dwordx4 v[0:1], v[4:7], off
	s_endpgm
	.section	.rodata,"a",@progbits
	.p2align	6, 0x0
	.amdhsa_kernel _Z20warp_exchange_kernelILj256ELj4ELj32EN6common18BlockedToStripedOpEiEvPT3_j
		.amdhsa_group_segment_fixed_size 4096
		.amdhsa_private_segment_fixed_size 0
		.amdhsa_kernarg_size 12
		.amdhsa_user_sgpr_count 2
		.amdhsa_user_sgpr_dispatch_ptr 0
		.amdhsa_user_sgpr_queue_ptr 0
		.amdhsa_user_sgpr_kernarg_segment_ptr 1
		.amdhsa_user_sgpr_dispatch_id 0
		.amdhsa_user_sgpr_kernarg_preload_length 0
		.amdhsa_user_sgpr_kernarg_preload_offset 0
		.amdhsa_user_sgpr_private_segment_size 0
		.amdhsa_uses_dynamic_stack 0
		.amdhsa_enable_private_segment 0
		.amdhsa_system_sgpr_workgroup_id_x 1
		.amdhsa_system_sgpr_workgroup_id_y 0
		.amdhsa_system_sgpr_workgroup_id_z 0
		.amdhsa_system_sgpr_workgroup_info 0
		.amdhsa_system_vgpr_workitem_id 0
		.amdhsa_next_free_vgpr 8
		.amdhsa_next_free_sgpr 5
		.amdhsa_accum_offset 8
		.amdhsa_reserve_vcc 0
		.amdhsa_float_round_mode_32 0
		.amdhsa_float_round_mode_16_64 0
		.amdhsa_float_denorm_mode_32 3
		.amdhsa_float_denorm_mode_16_64 3
		.amdhsa_dx10_clamp 1
		.amdhsa_ieee_mode 1
		.amdhsa_fp16_overflow 0
		.amdhsa_tg_split 0
		.amdhsa_exception_fp_ieee_invalid_op 0
		.amdhsa_exception_fp_denorm_src 0
		.amdhsa_exception_fp_ieee_div_zero 0
		.amdhsa_exception_fp_ieee_overflow 0
		.amdhsa_exception_fp_ieee_underflow 0
		.amdhsa_exception_fp_ieee_inexact 0
		.amdhsa_exception_int_div_zero 0
	.end_amdhsa_kernel
	.section	.text._Z20warp_exchange_kernelILj256ELj4ELj32EN6common18BlockedToStripedOpEiEvPT3_j,"axG",@progbits,_Z20warp_exchange_kernelILj256ELj4ELj32EN6common18BlockedToStripedOpEiEvPT3_j,comdat
.Lfunc_end3:
	.size	_Z20warp_exchange_kernelILj256ELj4ELj32EN6common18BlockedToStripedOpEiEvPT3_j, .Lfunc_end3-_Z20warp_exchange_kernelILj256ELj4ELj32EN6common18BlockedToStripedOpEiEvPT3_j
                                        ; -- End function
	.section	.AMDGPU.csdata,"",@progbits
; Kernel info:
; codeLenInByte = 196
; NumSgprs: 11
; NumVgprs: 8
; NumAgprs: 0
; TotalNumVgprs: 8
; ScratchSize: 0
; MemoryBound: 0
; FloatMode: 240
; IeeeMode: 1
; LDSByteSize: 4096 bytes/workgroup (compile time only)
; SGPRBlocks: 1
; VGPRBlocks: 0
; NumSGPRsForWavesPerEU: 11
; NumVGPRsForWavesPerEU: 8
; AccumOffset: 8
; Occupancy: 8
; WaveLimiterHint : 0
; COMPUTE_PGM_RSRC2:SCRATCH_EN: 0
; COMPUTE_PGM_RSRC2:USER_SGPR: 2
; COMPUTE_PGM_RSRC2:TRAP_HANDLER: 0
; COMPUTE_PGM_RSRC2:TGID_X_EN: 1
; COMPUTE_PGM_RSRC2:TGID_Y_EN: 0
; COMPUTE_PGM_RSRC2:TGID_Z_EN: 0
; COMPUTE_PGM_RSRC2:TIDIG_COMP_CNT: 0
; COMPUTE_PGM_RSRC3_GFX90A:ACCUM_OFFSET: 1
; COMPUTE_PGM_RSRC3_GFX90A:TG_SPLIT: 0
	.section	.text._Z20warp_exchange_kernelILj256ELj16ELj16EN6common18BlockedToStripedOpEiEvPT3_j,"axG",@progbits,_Z20warp_exchange_kernelILj256ELj16ELj16EN6common18BlockedToStripedOpEiEvPT3_j,comdat
	.protected	_Z20warp_exchange_kernelILj256ELj16ELj16EN6common18BlockedToStripedOpEiEvPT3_j ; -- Begin function _Z20warp_exchange_kernelILj256ELj16ELj16EN6common18BlockedToStripedOpEiEvPT3_j
	.globl	_Z20warp_exchange_kernelILj256ELj16ELj16EN6common18BlockedToStripedOpEiEvPT3_j
	.p2align	8
	.type	_Z20warp_exchange_kernelILj256ELj16ELj16EN6common18BlockedToStripedOpEiEvPT3_j,@function
_Z20warp_exchange_kernelILj256ELj16ELj16EN6common18BlockedToStripedOpEiEvPT3_j: ; @_Z20warp_exchange_kernelILj256ELj16ELj16EN6common18BlockedToStripedOpEiEvPT3_j
; %bb.0:
	s_load_dword s3, s[0:1], 0x8
	v_lshlrev_b32_e32 v16, 4, v0
	v_or_b32_e32 v17, 1, v16
	v_or_b32_e32 v18, 2, v16
	;; [unrolled: 1-line block ×14, first 2 shown]
	s_waitcnt lgkmcnt(0)
	s_cmp_lg_u32 s3, 0
	v_or_b32_e32 v31, 15, v16
	s_cbranch_scc0 .LBB4_6
; %bb.1:
	v_mbcnt_lo_u32_b32 v1, -1, 0
	v_mbcnt_hi_u32_b32 v1, -1, v1
	v_and_b32_e32 v1, 15, v1
	v_lshlrev_b32_e32 v0, 6, v0
	v_lshlrev_b32_e32 v2, 6, v1
	s_movk_i32 s4, 0x3c00
	v_and_or_b32 v32, v0, s4, v2
	v_mul_i32_i24_e32 v0, 0xffffffc4, v1
	v_add_u32_e32 v33, v32, v0
	v_mov_b32_e32 v8, v16
	v_mov_b32_e32 v9, v17
	;; [unrolled: 1-line block ×16, first 2 shown]
.LBB4_2:                                ; =>This Inner Loop Header: Depth=1
	s_waitcnt lgkmcnt(6)
	ds_write_b128 v32, v[8:11]
	s_waitcnt lgkmcnt(5)
	ds_write_b128 v32, v[12:15] offset:16
	s_waitcnt lgkmcnt(4)
	ds_write_b128 v32, v[4:7] offset:32
	;; [unrolled: 2-line block ×3, first 2 shown]
	; wave barrier
	ds_read2_b32 v[8:9], v33 offset1:16
	ds_read2_b32 v[10:11], v33 offset0:32 offset1:48
	ds_read2_b32 v[12:13], v33 offset0:64 offset1:80
	;; [unrolled: 1-line block ×7, first 2 shown]
	s_add_i32 s3, s3, -1
	s_cmp_lg_u32 s3, 0
	; wave barrier
	s_cbranch_scc1 .LBB4_2
; %bb.3:
	s_branch .LBB4_5
.LBB4_4:
	s_waitcnt lgkmcnt(6)
	v_mov_b64_e32 v[10:11], v[18:19]
	s_waitcnt lgkmcnt(5)
	v_mov_b64_e32 v[12:13], v[20:21]
	;; [unrolled: 2-line block ×7, first 2 shown]
	v_mov_b64_e32 v[8:9], v[16:17]
.LBB4_5:
	s_load_dwordx2 s[0:1], s[0:1], 0x0
	v_lshl_or_b32 v16, s2, 12, v16
	v_mov_b32_e32 v17, 0
	s_waitcnt lgkmcnt(0)
	v_lshl_add_u64 v[16:17], v[16:17], 2, s[0:1]
	global_store_dwordx4 v[16:17], v[8:11], off
	global_store_dwordx4 v[16:17], v[12:15], off offset:16
	global_store_dwordx4 v[16:17], v[4:7], off offset:32
	;; [unrolled: 1-line block ×3, first 2 shown]
	s_endpgm
.LBB4_6:
                                        ; implicit-def: $vgpr8_vgpr9
                                        ; implicit-def: $vgpr2_vgpr3
                                        ; implicit-def: $vgpr6_vgpr7
                                        ; implicit-def: $vgpr14_vgpr15
	s_cbranch_execnz .LBB4_4
	s_branch .LBB4_5
	.section	.rodata,"a",@progbits
	.p2align	6, 0x0
	.amdhsa_kernel _Z20warp_exchange_kernelILj256ELj16ELj16EN6common18BlockedToStripedOpEiEvPT3_j
		.amdhsa_group_segment_fixed_size 16384
		.amdhsa_private_segment_fixed_size 0
		.amdhsa_kernarg_size 12
		.amdhsa_user_sgpr_count 2
		.amdhsa_user_sgpr_dispatch_ptr 0
		.amdhsa_user_sgpr_queue_ptr 0
		.amdhsa_user_sgpr_kernarg_segment_ptr 1
		.amdhsa_user_sgpr_dispatch_id 0
		.amdhsa_user_sgpr_kernarg_preload_length 0
		.amdhsa_user_sgpr_kernarg_preload_offset 0
		.amdhsa_user_sgpr_private_segment_size 0
		.amdhsa_uses_dynamic_stack 0
		.amdhsa_enable_private_segment 0
		.amdhsa_system_sgpr_workgroup_id_x 1
		.amdhsa_system_sgpr_workgroup_id_y 0
		.amdhsa_system_sgpr_workgroup_id_z 0
		.amdhsa_system_sgpr_workgroup_info 0
		.amdhsa_system_vgpr_workitem_id 0
		.amdhsa_next_free_vgpr 34
		.amdhsa_next_free_sgpr 5
		.amdhsa_accum_offset 36
		.amdhsa_reserve_vcc 0
		.amdhsa_float_round_mode_32 0
		.amdhsa_float_round_mode_16_64 0
		.amdhsa_float_denorm_mode_32 3
		.amdhsa_float_denorm_mode_16_64 3
		.amdhsa_dx10_clamp 1
		.amdhsa_ieee_mode 1
		.amdhsa_fp16_overflow 0
		.amdhsa_tg_split 0
		.amdhsa_exception_fp_ieee_invalid_op 0
		.amdhsa_exception_fp_denorm_src 0
		.amdhsa_exception_fp_ieee_div_zero 0
		.amdhsa_exception_fp_ieee_overflow 0
		.amdhsa_exception_fp_ieee_underflow 0
		.amdhsa_exception_fp_ieee_inexact 0
		.amdhsa_exception_int_div_zero 0
	.end_amdhsa_kernel
	.section	.text._Z20warp_exchange_kernelILj256ELj16ELj16EN6common18BlockedToStripedOpEiEvPT3_j,"axG",@progbits,_Z20warp_exchange_kernelILj256ELj16ELj16EN6common18BlockedToStripedOpEiEvPT3_j,comdat
.Lfunc_end4:
	.size	_Z20warp_exchange_kernelILj256ELj16ELj16EN6common18BlockedToStripedOpEiEvPT3_j, .Lfunc_end4-_Z20warp_exchange_kernelILj256ELj16ELj16EN6common18BlockedToStripedOpEiEvPT3_j
                                        ; -- End function
	.section	.AMDGPU.csdata,"",@progbits
; Kernel info:
; codeLenInByte = 464
; NumSgprs: 11
; NumVgprs: 34
; NumAgprs: 0
; TotalNumVgprs: 34
; ScratchSize: 0
; MemoryBound: 0
; FloatMode: 240
; IeeeMode: 1
; LDSByteSize: 16384 bytes/workgroup (compile time only)
; SGPRBlocks: 1
; VGPRBlocks: 4
; NumSGPRsForWavesPerEU: 11
; NumVGPRsForWavesPerEU: 34
; AccumOffset: 36
; Occupancy: 4
; WaveLimiterHint : 0
; COMPUTE_PGM_RSRC2:SCRATCH_EN: 0
; COMPUTE_PGM_RSRC2:USER_SGPR: 2
; COMPUTE_PGM_RSRC2:TRAP_HANDLER: 0
; COMPUTE_PGM_RSRC2:TGID_X_EN: 1
; COMPUTE_PGM_RSRC2:TGID_Y_EN: 0
; COMPUTE_PGM_RSRC2:TGID_Z_EN: 0
; COMPUTE_PGM_RSRC2:TIDIG_COMP_CNT: 0
; COMPUTE_PGM_RSRC3_GFX90A:ACCUM_OFFSET: 8
; COMPUTE_PGM_RSRC3_GFX90A:TG_SPLIT: 0
	.section	.text._Z20warp_exchange_kernelILj256ELj16ELj32EN6common18BlockedToStripedOpEiEvPT3_j,"axG",@progbits,_Z20warp_exchange_kernelILj256ELj16ELj32EN6common18BlockedToStripedOpEiEvPT3_j,comdat
	.protected	_Z20warp_exchange_kernelILj256ELj16ELj32EN6common18BlockedToStripedOpEiEvPT3_j ; -- Begin function _Z20warp_exchange_kernelILj256ELj16ELj32EN6common18BlockedToStripedOpEiEvPT3_j
	.globl	_Z20warp_exchange_kernelILj256ELj16ELj32EN6common18BlockedToStripedOpEiEvPT3_j
	.p2align	8
	.type	_Z20warp_exchange_kernelILj256ELj16ELj32EN6common18BlockedToStripedOpEiEvPT3_j,@function
_Z20warp_exchange_kernelILj256ELj16ELj32EN6common18BlockedToStripedOpEiEvPT3_j: ; @_Z20warp_exchange_kernelILj256ELj16ELj32EN6common18BlockedToStripedOpEiEvPT3_j
; %bb.0:
	s_load_dword s3, s[0:1], 0x8
	v_lshlrev_b32_e32 v16, 4, v0
	v_or_b32_e32 v17, 1, v16
	v_or_b32_e32 v18, 2, v16
	;; [unrolled: 1-line block ×14, first 2 shown]
	s_waitcnt lgkmcnt(0)
	s_cmp_lg_u32 s3, 0
	v_or_b32_e32 v31, 15, v16
	s_cbranch_scc0 .LBB5_6
; %bb.1:
	v_mbcnt_lo_u32_b32 v1, -1, 0
	v_mbcnt_hi_u32_b32 v1, -1, v1
	v_and_b32_e32 v1, 31, v1
	v_lshlrev_b32_e32 v0, 6, v0
	v_lshlrev_b32_e32 v2, 6, v1
	s_movk_i32 s4, 0x3800
	v_and_or_b32 v32, v0, s4, v2
	v_mul_i32_i24_e32 v0, 0xffffffc4, v1
	v_add_u32_e32 v33, v32, v0
	v_add_u32_e32 v34, 0x400, v33
	v_mov_b32_e32 v8, v16
	v_mov_b32_e32 v9, v17
	;; [unrolled: 1-line block ×16, first 2 shown]
.LBB5_2:                                ; =>This Inner Loop Header: Depth=1
	s_waitcnt lgkmcnt(6)
	ds_write_b128 v32, v[8:11]
	s_waitcnt lgkmcnt(5)
	ds_write_b128 v32, v[12:15] offset:16
	s_waitcnt lgkmcnt(4)
	ds_write_b128 v32, v[4:7] offset:32
	;; [unrolled: 2-line block ×3, first 2 shown]
	; wave barrier
	ds_read2_b32 v[8:9], v33 offset1:32
	ds_read2_b32 v[10:11], v33 offset0:64 offset1:96
	ds_read2_b32 v[12:13], v33 offset0:128 offset1:160
	;; [unrolled: 1-line block ×3, first 2 shown]
	ds_read2_b32 v[4:5], v34 offset1:32
	ds_read2_b32 v[6:7], v34 offset0:64 offset1:96
	ds_read2_b32 v[0:1], v34 offset0:128 offset1:160
	ds_read2_b32 v[2:3], v34 offset0:192 offset1:224
	s_add_i32 s3, s3, -1
	s_cmp_lg_u32 s3, 0
	; wave barrier
	s_cbranch_scc1 .LBB5_2
; %bb.3:
	s_branch .LBB5_5
.LBB5_4:
	s_waitcnt lgkmcnt(6)
	v_mov_b64_e32 v[10:11], v[18:19]
	s_waitcnt lgkmcnt(5)
	v_mov_b64_e32 v[12:13], v[20:21]
	;; [unrolled: 2-line block ×7, first 2 shown]
	v_mov_b64_e32 v[8:9], v[16:17]
.LBB5_5:
	s_load_dwordx2 s[0:1], s[0:1], 0x0
	v_lshl_or_b32 v16, s2, 12, v16
	v_mov_b32_e32 v17, 0
	s_waitcnt lgkmcnt(0)
	v_lshl_add_u64 v[16:17], v[16:17], 2, s[0:1]
	global_store_dwordx4 v[16:17], v[8:11], off
	global_store_dwordx4 v[16:17], v[12:15], off offset:16
	global_store_dwordx4 v[16:17], v[4:7], off offset:32
	;; [unrolled: 1-line block ×3, first 2 shown]
	s_endpgm
.LBB5_6:
                                        ; implicit-def: $vgpr8_vgpr9
                                        ; implicit-def: $vgpr2_vgpr3
                                        ; implicit-def: $vgpr6_vgpr7
                                        ; implicit-def: $vgpr14_vgpr15
	s_cbranch_execnz .LBB5_4
	s_branch .LBB5_5
	.section	.rodata,"a",@progbits
	.p2align	6, 0x0
	.amdhsa_kernel _Z20warp_exchange_kernelILj256ELj16ELj32EN6common18BlockedToStripedOpEiEvPT3_j
		.amdhsa_group_segment_fixed_size 16384
		.amdhsa_private_segment_fixed_size 0
		.amdhsa_kernarg_size 12
		.amdhsa_user_sgpr_count 2
		.amdhsa_user_sgpr_dispatch_ptr 0
		.amdhsa_user_sgpr_queue_ptr 0
		.amdhsa_user_sgpr_kernarg_segment_ptr 1
		.amdhsa_user_sgpr_dispatch_id 0
		.amdhsa_user_sgpr_kernarg_preload_length 0
		.amdhsa_user_sgpr_kernarg_preload_offset 0
		.amdhsa_user_sgpr_private_segment_size 0
		.amdhsa_uses_dynamic_stack 0
		.amdhsa_enable_private_segment 0
		.amdhsa_system_sgpr_workgroup_id_x 1
		.amdhsa_system_sgpr_workgroup_id_y 0
		.amdhsa_system_sgpr_workgroup_id_z 0
		.amdhsa_system_sgpr_workgroup_info 0
		.amdhsa_system_vgpr_workitem_id 0
		.amdhsa_next_free_vgpr 35
		.amdhsa_next_free_sgpr 5
		.amdhsa_accum_offset 36
		.amdhsa_reserve_vcc 0
		.amdhsa_float_round_mode_32 0
		.amdhsa_float_round_mode_16_64 0
		.amdhsa_float_denorm_mode_32 3
		.amdhsa_float_denorm_mode_16_64 3
		.amdhsa_dx10_clamp 1
		.amdhsa_ieee_mode 1
		.amdhsa_fp16_overflow 0
		.amdhsa_tg_split 0
		.amdhsa_exception_fp_ieee_invalid_op 0
		.amdhsa_exception_fp_denorm_src 0
		.amdhsa_exception_fp_ieee_div_zero 0
		.amdhsa_exception_fp_ieee_overflow 0
		.amdhsa_exception_fp_ieee_underflow 0
		.amdhsa_exception_fp_ieee_inexact 0
		.amdhsa_exception_int_div_zero 0
	.end_amdhsa_kernel
	.section	.text._Z20warp_exchange_kernelILj256ELj16ELj32EN6common18BlockedToStripedOpEiEvPT3_j,"axG",@progbits,_Z20warp_exchange_kernelILj256ELj16ELj32EN6common18BlockedToStripedOpEiEvPT3_j,comdat
.Lfunc_end5:
	.size	_Z20warp_exchange_kernelILj256ELj16ELj32EN6common18BlockedToStripedOpEiEvPT3_j, .Lfunc_end5-_Z20warp_exchange_kernelILj256ELj16ELj32EN6common18BlockedToStripedOpEiEvPT3_j
                                        ; -- End function
	.section	.AMDGPU.csdata,"",@progbits
; Kernel info:
; codeLenInByte = 472
; NumSgprs: 11
; NumVgprs: 35
; NumAgprs: 0
; TotalNumVgprs: 35
; ScratchSize: 0
; MemoryBound: 0
; FloatMode: 240
; IeeeMode: 1
; LDSByteSize: 16384 bytes/workgroup (compile time only)
; SGPRBlocks: 1
; VGPRBlocks: 4
; NumSGPRsForWavesPerEU: 11
; NumVGPRsForWavesPerEU: 35
; AccumOffset: 36
; Occupancy: 4
; WaveLimiterHint : 0
; COMPUTE_PGM_RSRC2:SCRATCH_EN: 0
; COMPUTE_PGM_RSRC2:USER_SGPR: 2
; COMPUTE_PGM_RSRC2:TRAP_HANDLER: 0
; COMPUTE_PGM_RSRC2:TGID_X_EN: 1
; COMPUTE_PGM_RSRC2:TGID_Y_EN: 0
; COMPUTE_PGM_RSRC2:TGID_Z_EN: 0
; COMPUTE_PGM_RSRC2:TIDIG_COMP_CNT: 0
; COMPUTE_PGM_RSRC3_GFX90A:ACCUM_OFFSET: 8
; COMPUTE_PGM_RSRC3_GFX90A:TG_SPLIT: 0
	.section	.text._Z20warp_exchange_kernelILj256ELj32ELj32EN6common18BlockedToStripedOpEiEvPT3_j,"axG",@progbits,_Z20warp_exchange_kernelILj256ELj32ELj32EN6common18BlockedToStripedOpEiEvPT3_j,comdat
	.protected	_Z20warp_exchange_kernelILj256ELj32ELj32EN6common18BlockedToStripedOpEiEvPT3_j ; -- Begin function _Z20warp_exchange_kernelILj256ELj32ELj32EN6common18BlockedToStripedOpEiEvPT3_j
	.globl	_Z20warp_exchange_kernelILj256ELj32ELj32EN6common18BlockedToStripedOpEiEvPT3_j
	.p2align	8
	.type	_Z20warp_exchange_kernelILj256ELj32ELj32EN6common18BlockedToStripedOpEiEvPT3_j,@function
_Z20warp_exchange_kernelILj256ELj32ELj32EN6common18BlockedToStripedOpEiEvPT3_j: ; @_Z20warp_exchange_kernelILj256ELj32ELj32EN6common18BlockedToStripedOpEiEvPT3_j
; %bb.0:
	s_load_dword s3, s[0:1], 0x8
	v_lshlrev_b32_e32 v32, 5, v0
	v_or_b32_e32 v33, 1, v32
	v_or_b32_e32 v34, 2, v32
	;; [unrolled: 1-line block ×30, first 2 shown]
	s_waitcnt lgkmcnt(0)
	s_cmp_lg_u32 s3, 0
	v_or_b32_e32 v63, 31, v32
	s_cbranch_scc0 .LBB6_6
; %bb.1:
	v_mbcnt_lo_u32_b32 v1, -1, 0
	v_mbcnt_hi_u32_b32 v1, -1, v1
	v_and_b32_e32 v1, 31, v1
	v_lshlrev_b32_e32 v0, 7, v0
	v_lshlrev_b32_e32 v2, 7, v1
	s_movk_i32 s4, 0x7000
	v_and_or_b32 v64, v0, s4, v2
	v_mul_i32_i24_e32 v0, 0xffffff84, v1
	v_add_u32_e32 v65, v64, v0
	v_add_u32_e32 v66, 0x400, v65
	;; [unrolled: 1-line block ×4, first 2 shown]
	v_mov_b32_e32 v16, v32
	v_mov_b32_e32 v17, v33
	;; [unrolled: 1-line block ×32, first 2 shown]
.LBB6_2:                                ; =>This Inner Loop Header: Depth=1
	s_waitcnt lgkmcnt(14)
	ds_write_b128 v64, v[16:19]
	s_waitcnt lgkmcnt(13)
	ds_write_b128 v64, v[28:31] offset:16
	s_waitcnt lgkmcnt(12)
	ds_write_b128 v64, v[24:27] offset:32
	;; [unrolled: 2-line block ×7, first 2 shown]
	; wave barrier
	ds_read2_b32 v[16:17], v65 offset1:32
	ds_read2_b32 v[18:19], v65 offset0:64 offset1:96
	ds_read2_b32 v[28:29], v65 offset0:128 offset1:160
	ds_read2_b32 v[30:31], v65 offset0:192 offset1:224
	ds_read2_b32 v[24:25], v66 offset1:32
	ds_read2_b32 v[26:27], v66 offset0:64 offset1:96
	ds_read2_b32 v[20:21], v66 offset0:128 offset1:160
	ds_read2_b32 v[22:23], v66 offset0:192 offset1:224
	ds_read2_b32 v[12:13], v67 offset1:32
	ds_read2_b32 v[14:15], v67 offset0:64 offset1:96
	ds_read2_b32 v[8:9], v67 offset0:128 offset1:160
	ds_read2_b32 v[10:11], v67 offset0:192 offset1:224
	ds_read2_b32 v[4:5], v68 offset1:32
	ds_read2_b32 v[6:7], v68 offset0:64 offset1:96
	ds_read2_b32 v[0:1], v68 offset0:128 offset1:160
	ds_read2_b32 v[2:3], v68 offset0:192 offset1:224
	s_add_i32 s3, s3, -1
	s_cmp_lg_u32 s3, 0
	; wave barrier
	s_cbranch_scc1 .LBB6_2
; %bb.3:
	s_branch .LBB6_5
.LBB6_4:
	s_waitcnt lgkmcnt(14)
	v_mov_b64_e32 v[18:19], v[34:35]
	s_waitcnt lgkmcnt(13)
	v_mov_b64_e32 v[28:29], v[36:37]
	;; [unrolled: 2-line block ×15, first 2 shown]
	v_mov_b64_e32 v[16:17], v[32:33]
.LBB6_5:
	s_load_dwordx2 s[0:1], s[0:1], 0x0
	v_lshl_or_b32 v32, s2, 13, v32
	v_mov_b32_e32 v33, 0
	s_waitcnt lgkmcnt(0)
	v_lshl_add_u64 v[32:33], v[32:33], 2, s[0:1]
	global_store_dwordx4 v[32:33], v[16:19], off
	global_store_dwordx4 v[32:33], v[28:31], off offset:16
	global_store_dwordx4 v[32:33], v[24:27], off offset:32
	;; [unrolled: 1-line block ×7, first 2 shown]
	s_endpgm
.LBB6_6:
                                        ; implicit-def: $vgpr16_vgpr17
                                        ; implicit-def: $vgpr2_vgpr3
                                        ; implicit-def: $vgpr6_vgpr7
                                        ; implicit-def: $vgpr10_vgpr11
                                        ; implicit-def: $vgpr14_vgpr15
                                        ; implicit-def: $vgpr22_vgpr23
                                        ; implicit-def: $vgpr26_vgpr27
                                        ; implicit-def: $vgpr30_vgpr31
	s_cbranch_execnz .LBB6_4
	s_branch .LBB6_5
	.section	.rodata,"a",@progbits
	.p2align	6, 0x0
	.amdhsa_kernel _Z20warp_exchange_kernelILj256ELj32ELj32EN6common18BlockedToStripedOpEiEvPT3_j
		.amdhsa_group_segment_fixed_size 32768
		.amdhsa_private_segment_fixed_size 0
		.amdhsa_kernarg_size 12
		.amdhsa_user_sgpr_count 2
		.amdhsa_user_sgpr_dispatch_ptr 0
		.amdhsa_user_sgpr_queue_ptr 0
		.amdhsa_user_sgpr_kernarg_segment_ptr 1
		.amdhsa_user_sgpr_dispatch_id 0
		.amdhsa_user_sgpr_kernarg_preload_length 0
		.amdhsa_user_sgpr_kernarg_preload_offset 0
		.amdhsa_user_sgpr_private_segment_size 0
		.amdhsa_uses_dynamic_stack 0
		.amdhsa_enable_private_segment 0
		.amdhsa_system_sgpr_workgroup_id_x 1
		.amdhsa_system_sgpr_workgroup_id_y 0
		.amdhsa_system_sgpr_workgroup_id_z 0
		.amdhsa_system_sgpr_workgroup_info 0
		.amdhsa_system_vgpr_workitem_id 0
		.amdhsa_next_free_vgpr 69
		.amdhsa_next_free_sgpr 5
		.amdhsa_accum_offset 72
		.amdhsa_reserve_vcc 0
		.amdhsa_float_round_mode_32 0
		.amdhsa_float_round_mode_16_64 0
		.amdhsa_float_denorm_mode_32 3
		.amdhsa_float_denorm_mode_16_64 3
		.amdhsa_dx10_clamp 1
		.amdhsa_ieee_mode 1
		.amdhsa_fp16_overflow 0
		.amdhsa_tg_split 0
		.amdhsa_exception_fp_ieee_invalid_op 0
		.amdhsa_exception_fp_denorm_src 0
		.amdhsa_exception_fp_ieee_div_zero 0
		.amdhsa_exception_fp_ieee_overflow 0
		.amdhsa_exception_fp_ieee_underflow 0
		.amdhsa_exception_fp_ieee_inexact 0
		.amdhsa_exception_int_div_zero 0
	.end_amdhsa_kernel
	.section	.text._Z20warp_exchange_kernelILj256ELj32ELj32EN6common18BlockedToStripedOpEiEvPT3_j,"axG",@progbits,_Z20warp_exchange_kernelILj256ELj32ELj32EN6common18BlockedToStripedOpEiEvPT3_j,comdat
.Lfunc_end6:
	.size	_Z20warp_exchange_kernelILj256ELj32ELj32EN6common18BlockedToStripedOpEiEvPT3_j, .Lfunc_end6-_Z20warp_exchange_kernelILj256ELj32ELj32EN6common18BlockedToStripedOpEiEvPT3_j
                                        ; -- End function
	.section	.AMDGPU.csdata,"",@progbits
; Kernel info:
; codeLenInByte = 824
; NumSgprs: 11
; NumVgprs: 69
; NumAgprs: 0
; TotalNumVgprs: 69
; ScratchSize: 0
; MemoryBound: 0
; FloatMode: 240
; IeeeMode: 1
; LDSByteSize: 32768 bytes/workgroup (compile time only)
; SGPRBlocks: 1
; VGPRBlocks: 8
; NumSGPRsForWavesPerEU: 11
; NumVGPRsForWavesPerEU: 69
; AccumOffset: 72
; Occupancy: 2
; WaveLimiterHint : 0
; COMPUTE_PGM_RSRC2:SCRATCH_EN: 0
; COMPUTE_PGM_RSRC2:USER_SGPR: 2
; COMPUTE_PGM_RSRC2:TRAP_HANDLER: 0
; COMPUTE_PGM_RSRC2:TGID_X_EN: 1
; COMPUTE_PGM_RSRC2:TGID_Y_EN: 0
; COMPUTE_PGM_RSRC2:TGID_Z_EN: 0
; COMPUTE_PGM_RSRC2:TIDIG_COMP_CNT: 0
; COMPUTE_PGM_RSRC3_GFX90A:ACCUM_OFFSET: 17
; COMPUTE_PGM_RSRC3_GFX90A:TG_SPLIT: 0
	.section	.text._Z20warp_exchange_kernelILj256ELj1ELj16EN6common18StripedToBlockedOpEiEvPT3_j,"axG",@progbits,_Z20warp_exchange_kernelILj256ELj1ELj16EN6common18StripedToBlockedOpEiEvPT3_j,comdat
	.protected	_Z20warp_exchange_kernelILj256ELj1ELj16EN6common18StripedToBlockedOpEiEvPT3_j ; -- Begin function _Z20warp_exchange_kernelILj256ELj1ELj16EN6common18StripedToBlockedOpEiEvPT3_j
	.globl	_Z20warp_exchange_kernelILj256ELj1ELj16EN6common18StripedToBlockedOpEiEvPT3_j
	.p2align	8
	.type	_Z20warp_exchange_kernelILj256ELj1ELj16EN6common18StripedToBlockedOpEiEvPT3_j,@function
_Z20warp_exchange_kernelILj256ELj1ELj16EN6common18StripedToBlockedOpEiEvPT3_j: ; @_Z20warp_exchange_kernelILj256ELj1ELj16EN6common18StripedToBlockedOpEiEvPT3_j
; %bb.0:
	s_load_dword s3, s[0:1], 0x8
	s_waitcnt lgkmcnt(0)
	s_cmp_eq_u32 s3, 0
	s_cbranch_scc1 .LBB7_3
; %bb.1:
	v_mbcnt_lo_u32_b32 v2, -1, 0
	v_mbcnt_hi_u32_b32 v2, -1, v2
	v_and_b32_e32 v2, 15, v2
	v_lshlrev_b32_e32 v1, 2, v0
	v_lshlrev_b32_e32 v2, 2, v2
	s_movk_i32 s4, 0x3c0
	v_and_or_b32 v2, v1, s4, v2
	v_mov_b32_e32 v1, v0
.LBB7_2:                                ; =>This Inner Loop Header: Depth=1
	s_waitcnt lgkmcnt(0)
	ds_write_b32 v2, v1
	; wave barrier
	ds_read_b32 v1, v2
	s_add_i32 s3, s3, -1
	s_cmp_lg_u32 s3, 0
	; wave barrier
	s_cbranch_scc1 .LBB7_2
	s_branch .LBB7_4
.LBB7_3:
	v_mov_b32_e32 v1, v0
.LBB7_4:
	s_load_dwordx2 s[0:1], s[0:1], 0x0
	v_lshl_or_b32 v2, s2, 8, v0
	v_mov_b32_e32 v3, 0
	s_waitcnt lgkmcnt(0)
	v_lshl_add_u64 v[2:3], v[2:3], 2, s[0:1]
	global_store_dword v[2:3], v1, off
	s_endpgm
	.section	.rodata,"a",@progbits
	.p2align	6, 0x0
	.amdhsa_kernel _Z20warp_exchange_kernelILj256ELj1ELj16EN6common18StripedToBlockedOpEiEvPT3_j
		.amdhsa_group_segment_fixed_size 1024
		.amdhsa_private_segment_fixed_size 0
		.amdhsa_kernarg_size 12
		.amdhsa_user_sgpr_count 2
		.amdhsa_user_sgpr_dispatch_ptr 0
		.amdhsa_user_sgpr_queue_ptr 0
		.amdhsa_user_sgpr_kernarg_segment_ptr 1
		.amdhsa_user_sgpr_dispatch_id 0
		.amdhsa_user_sgpr_kernarg_preload_length 0
		.amdhsa_user_sgpr_kernarg_preload_offset 0
		.amdhsa_user_sgpr_private_segment_size 0
		.amdhsa_uses_dynamic_stack 0
		.amdhsa_enable_private_segment 0
		.amdhsa_system_sgpr_workgroup_id_x 1
		.amdhsa_system_sgpr_workgroup_id_y 0
		.amdhsa_system_sgpr_workgroup_id_z 0
		.amdhsa_system_sgpr_workgroup_info 0
		.amdhsa_system_vgpr_workitem_id 0
		.amdhsa_next_free_vgpr 4
		.amdhsa_next_free_sgpr 5
		.amdhsa_accum_offset 4
		.amdhsa_reserve_vcc 0
		.amdhsa_float_round_mode_32 0
		.amdhsa_float_round_mode_16_64 0
		.amdhsa_float_denorm_mode_32 3
		.amdhsa_float_denorm_mode_16_64 3
		.amdhsa_dx10_clamp 1
		.amdhsa_ieee_mode 1
		.amdhsa_fp16_overflow 0
		.amdhsa_tg_split 0
		.amdhsa_exception_fp_ieee_invalid_op 0
		.amdhsa_exception_fp_denorm_src 0
		.amdhsa_exception_fp_ieee_div_zero 0
		.amdhsa_exception_fp_ieee_overflow 0
		.amdhsa_exception_fp_ieee_underflow 0
		.amdhsa_exception_fp_ieee_inexact 0
		.amdhsa_exception_int_div_zero 0
	.end_amdhsa_kernel
	.section	.text._Z20warp_exchange_kernelILj256ELj1ELj16EN6common18StripedToBlockedOpEiEvPT3_j,"axG",@progbits,_Z20warp_exchange_kernelILj256ELj1ELj16EN6common18StripedToBlockedOpEiEvPT3_j,comdat
.Lfunc_end7:
	.size	_Z20warp_exchange_kernelILj256ELj1ELj16EN6common18StripedToBlockedOpEiEvPT3_j, .Lfunc_end7-_Z20warp_exchange_kernelILj256ELj1ELj16EN6common18StripedToBlockedOpEiEvPT3_j
                                        ; -- End function
	.section	.AMDGPU.csdata,"",@progbits
; Kernel info:
; codeLenInByte = 148
; NumSgprs: 11
; NumVgprs: 4
; NumAgprs: 0
; TotalNumVgprs: 4
; ScratchSize: 0
; MemoryBound: 0
; FloatMode: 240
; IeeeMode: 1
; LDSByteSize: 1024 bytes/workgroup (compile time only)
; SGPRBlocks: 1
; VGPRBlocks: 0
; NumSGPRsForWavesPerEU: 11
; NumVGPRsForWavesPerEU: 4
; AccumOffset: 4
; Occupancy: 8
; WaveLimiterHint : 0
; COMPUTE_PGM_RSRC2:SCRATCH_EN: 0
; COMPUTE_PGM_RSRC2:USER_SGPR: 2
; COMPUTE_PGM_RSRC2:TRAP_HANDLER: 0
; COMPUTE_PGM_RSRC2:TGID_X_EN: 1
; COMPUTE_PGM_RSRC2:TGID_Y_EN: 0
; COMPUTE_PGM_RSRC2:TGID_Z_EN: 0
; COMPUTE_PGM_RSRC2:TIDIG_COMP_CNT: 0
; COMPUTE_PGM_RSRC3_GFX90A:ACCUM_OFFSET: 0
; COMPUTE_PGM_RSRC3_GFX90A:TG_SPLIT: 0
	.section	.text._Z20warp_exchange_kernelILj256ELj1ELj32EN6common18StripedToBlockedOpEiEvPT3_j,"axG",@progbits,_Z20warp_exchange_kernelILj256ELj1ELj32EN6common18StripedToBlockedOpEiEvPT3_j,comdat
	.protected	_Z20warp_exchange_kernelILj256ELj1ELj32EN6common18StripedToBlockedOpEiEvPT3_j ; -- Begin function _Z20warp_exchange_kernelILj256ELj1ELj32EN6common18StripedToBlockedOpEiEvPT3_j
	.globl	_Z20warp_exchange_kernelILj256ELj1ELj32EN6common18StripedToBlockedOpEiEvPT3_j
	.p2align	8
	.type	_Z20warp_exchange_kernelILj256ELj1ELj32EN6common18StripedToBlockedOpEiEvPT3_j,@function
_Z20warp_exchange_kernelILj256ELj1ELj32EN6common18StripedToBlockedOpEiEvPT3_j: ; @_Z20warp_exchange_kernelILj256ELj1ELj32EN6common18StripedToBlockedOpEiEvPT3_j
; %bb.0:
	s_load_dword s3, s[0:1], 0x8
	s_waitcnt lgkmcnt(0)
	s_cmp_eq_u32 s3, 0
	s_cbranch_scc1 .LBB8_3
; %bb.1:
	v_mbcnt_lo_u32_b32 v2, -1, 0
	v_mbcnt_hi_u32_b32 v2, -1, v2
	v_and_b32_e32 v2, 31, v2
	v_lshlrev_b32_e32 v1, 2, v0
	v_lshlrev_b32_e32 v2, 2, v2
	s_movk_i32 s4, 0x380
	v_and_or_b32 v2, v1, s4, v2
	v_mov_b32_e32 v1, v0
.LBB8_2:                                ; =>This Inner Loop Header: Depth=1
	s_waitcnt lgkmcnt(0)
	ds_write_b32 v2, v1
	; wave barrier
	ds_read_b32 v1, v2
	s_add_i32 s3, s3, -1
	s_cmp_lg_u32 s3, 0
	; wave barrier
	s_cbranch_scc1 .LBB8_2
	s_branch .LBB8_4
.LBB8_3:
	v_mov_b32_e32 v1, v0
.LBB8_4:
	s_load_dwordx2 s[0:1], s[0:1], 0x0
	v_lshl_or_b32 v2, s2, 8, v0
	v_mov_b32_e32 v3, 0
	s_waitcnt lgkmcnt(0)
	v_lshl_add_u64 v[2:3], v[2:3], 2, s[0:1]
	global_store_dword v[2:3], v1, off
	s_endpgm
	.section	.rodata,"a",@progbits
	.p2align	6, 0x0
	.amdhsa_kernel _Z20warp_exchange_kernelILj256ELj1ELj32EN6common18StripedToBlockedOpEiEvPT3_j
		.amdhsa_group_segment_fixed_size 1024
		.amdhsa_private_segment_fixed_size 0
		.amdhsa_kernarg_size 12
		.amdhsa_user_sgpr_count 2
		.amdhsa_user_sgpr_dispatch_ptr 0
		.amdhsa_user_sgpr_queue_ptr 0
		.amdhsa_user_sgpr_kernarg_segment_ptr 1
		.amdhsa_user_sgpr_dispatch_id 0
		.amdhsa_user_sgpr_kernarg_preload_length 0
		.amdhsa_user_sgpr_kernarg_preload_offset 0
		.amdhsa_user_sgpr_private_segment_size 0
		.amdhsa_uses_dynamic_stack 0
		.amdhsa_enable_private_segment 0
		.amdhsa_system_sgpr_workgroup_id_x 1
		.amdhsa_system_sgpr_workgroup_id_y 0
		.amdhsa_system_sgpr_workgroup_id_z 0
		.amdhsa_system_sgpr_workgroup_info 0
		.amdhsa_system_vgpr_workitem_id 0
		.amdhsa_next_free_vgpr 4
		.amdhsa_next_free_sgpr 5
		.amdhsa_accum_offset 4
		.amdhsa_reserve_vcc 0
		.amdhsa_float_round_mode_32 0
		.amdhsa_float_round_mode_16_64 0
		.amdhsa_float_denorm_mode_32 3
		.amdhsa_float_denorm_mode_16_64 3
		.amdhsa_dx10_clamp 1
		.amdhsa_ieee_mode 1
		.amdhsa_fp16_overflow 0
		.amdhsa_tg_split 0
		.amdhsa_exception_fp_ieee_invalid_op 0
		.amdhsa_exception_fp_denorm_src 0
		.amdhsa_exception_fp_ieee_div_zero 0
		.amdhsa_exception_fp_ieee_overflow 0
		.amdhsa_exception_fp_ieee_underflow 0
		.amdhsa_exception_fp_ieee_inexact 0
		.amdhsa_exception_int_div_zero 0
	.end_amdhsa_kernel
	.section	.text._Z20warp_exchange_kernelILj256ELj1ELj32EN6common18StripedToBlockedOpEiEvPT3_j,"axG",@progbits,_Z20warp_exchange_kernelILj256ELj1ELj32EN6common18StripedToBlockedOpEiEvPT3_j,comdat
.Lfunc_end8:
	.size	_Z20warp_exchange_kernelILj256ELj1ELj32EN6common18StripedToBlockedOpEiEvPT3_j, .Lfunc_end8-_Z20warp_exchange_kernelILj256ELj1ELj32EN6common18StripedToBlockedOpEiEvPT3_j
                                        ; -- End function
	.section	.AMDGPU.csdata,"",@progbits
; Kernel info:
; codeLenInByte = 148
; NumSgprs: 11
; NumVgprs: 4
; NumAgprs: 0
; TotalNumVgprs: 4
; ScratchSize: 0
; MemoryBound: 0
; FloatMode: 240
; IeeeMode: 1
; LDSByteSize: 1024 bytes/workgroup (compile time only)
; SGPRBlocks: 1
; VGPRBlocks: 0
; NumSGPRsForWavesPerEU: 11
; NumVGPRsForWavesPerEU: 4
; AccumOffset: 4
; Occupancy: 8
; WaveLimiterHint : 0
; COMPUTE_PGM_RSRC2:SCRATCH_EN: 0
; COMPUTE_PGM_RSRC2:USER_SGPR: 2
; COMPUTE_PGM_RSRC2:TRAP_HANDLER: 0
; COMPUTE_PGM_RSRC2:TGID_X_EN: 1
; COMPUTE_PGM_RSRC2:TGID_Y_EN: 0
; COMPUTE_PGM_RSRC2:TGID_Z_EN: 0
; COMPUTE_PGM_RSRC2:TIDIG_COMP_CNT: 0
; COMPUTE_PGM_RSRC3_GFX90A:ACCUM_OFFSET: 0
; COMPUTE_PGM_RSRC3_GFX90A:TG_SPLIT: 0
	.section	.text._Z20warp_exchange_kernelILj256ELj4ELj16EN6common18StripedToBlockedOpEiEvPT3_j,"axG",@progbits,_Z20warp_exchange_kernelILj256ELj4ELj16EN6common18StripedToBlockedOpEiEvPT3_j,comdat
	.protected	_Z20warp_exchange_kernelILj256ELj4ELj16EN6common18StripedToBlockedOpEiEvPT3_j ; -- Begin function _Z20warp_exchange_kernelILj256ELj4ELj16EN6common18StripedToBlockedOpEiEvPT3_j
	.globl	_Z20warp_exchange_kernelILj256ELj4ELj16EN6common18StripedToBlockedOpEiEvPT3_j
	.p2align	8
	.type	_Z20warp_exchange_kernelILj256ELj4ELj16EN6common18StripedToBlockedOpEiEvPT3_j,@function
_Z20warp_exchange_kernelILj256ELj4ELj16EN6common18StripedToBlockedOpEiEvPT3_j: ; @_Z20warp_exchange_kernelILj256ELj4ELj16EN6common18StripedToBlockedOpEiEvPT3_j
; %bb.0:
	s_load_dword s3, s[0:1], 0x8
	v_lshlrev_b32_e32 v2, 2, v0
	v_or_b32_e32 v5, 1, v2
	v_or_b32_e32 v6, 2, v2
	;; [unrolled: 1-line block ×3, first 2 shown]
	s_waitcnt lgkmcnt(0)
	s_cmp_eq_u32 s3, 0
	s_cbranch_scc1 .LBB9_3
; %bb.1:
	v_mbcnt_lo_u32_b32 v1, -1, 0
	v_mbcnt_hi_u32_b32 v1, -1, v1
	v_and_b32_e32 v1, 15, v1
	v_lshlrev_b32_e32 v0, 4, v0
	v_lshlrev_b32_e32 v3, 2, v1
	s_movk_i32 s4, 0xf00
	v_and_or_b32 v0, v0, s4, v3
	v_mul_u32_u24_e32 v1, 12, v1
	v_add_u32_e32 v1, v0, v1
	v_mov_b32_e32 v4, v2
.LBB9_2:                                ; =>This Inner Loop Header: Depth=1
	s_waitcnt lgkmcnt(0)
	ds_write2_b32 v0, v4, v5 offset1:16
	ds_write2_b32 v0, v6, v7 offset0:32 offset1:48
	; wave barrier
	ds_read_b128 v[4:7], v1
	s_add_i32 s3, s3, -1
	s_cmp_lg_u32 s3, 0
	; wave barrier
	s_cbranch_scc1 .LBB9_2
	s_branch .LBB9_4
.LBB9_3:
	v_mov_b32_e32 v3, v5
	v_mov_b32_e32 v4, v6
	;; [unrolled: 1-line block ×3, first 2 shown]
	v_mov_b64_e32 v[6:7], v[4:5]
	v_mov_b64_e32 v[4:5], v[2:3]
.LBB9_4:
	s_load_dwordx2 s[0:1], s[0:1], 0x0
	v_lshl_or_b32 v0, s2, 10, v2
	v_mov_b32_e32 v1, 0
	s_waitcnt lgkmcnt(0)
	v_lshl_add_u64 v[0:1], v[0:1], 2, s[0:1]
	global_store_dwordx4 v[0:1], v[4:7], off
	s_endpgm
	.section	.rodata,"a",@progbits
	.p2align	6, 0x0
	.amdhsa_kernel _Z20warp_exchange_kernelILj256ELj4ELj16EN6common18StripedToBlockedOpEiEvPT3_j
		.amdhsa_group_segment_fixed_size 4096
		.amdhsa_private_segment_fixed_size 0
		.amdhsa_kernarg_size 12
		.amdhsa_user_sgpr_count 2
		.amdhsa_user_sgpr_dispatch_ptr 0
		.amdhsa_user_sgpr_queue_ptr 0
		.amdhsa_user_sgpr_kernarg_segment_ptr 1
		.amdhsa_user_sgpr_dispatch_id 0
		.amdhsa_user_sgpr_kernarg_preload_length 0
		.amdhsa_user_sgpr_kernarg_preload_offset 0
		.amdhsa_user_sgpr_private_segment_size 0
		.amdhsa_uses_dynamic_stack 0
		.amdhsa_enable_private_segment 0
		.amdhsa_system_sgpr_workgroup_id_x 1
		.amdhsa_system_sgpr_workgroup_id_y 0
		.amdhsa_system_sgpr_workgroup_id_z 0
		.amdhsa_system_sgpr_workgroup_info 0
		.amdhsa_system_vgpr_workitem_id 0
		.amdhsa_next_free_vgpr 8
		.amdhsa_next_free_sgpr 5
		.amdhsa_accum_offset 8
		.amdhsa_reserve_vcc 0
		.amdhsa_float_round_mode_32 0
		.amdhsa_float_round_mode_16_64 0
		.amdhsa_float_denorm_mode_32 3
		.amdhsa_float_denorm_mode_16_64 3
		.amdhsa_dx10_clamp 1
		.amdhsa_ieee_mode 1
		.amdhsa_fp16_overflow 0
		.amdhsa_tg_split 0
		.amdhsa_exception_fp_ieee_invalid_op 0
		.amdhsa_exception_fp_denorm_src 0
		.amdhsa_exception_fp_ieee_div_zero 0
		.amdhsa_exception_fp_ieee_overflow 0
		.amdhsa_exception_fp_ieee_underflow 0
		.amdhsa_exception_fp_ieee_inexact 0
		.amdhsa_exception_int_div_zero 0
	.end_amdhsa_kernel
	.section	.text._Z20warp_exchange_kernelILj256ELj4ELj16EN6common18StripedToBlockedOpEiEvPT3_j,"axG",@progbits,_Z20warp_exchange_kernelILj256ELj4ELj16EN6common18StripedToBlockedOpEiEvPT3_j,comdat
.Lfunc_end9:
	.size	_Z20warp_exchange_kernelILj256ELj4ELj16EN6common18StripedToBlockedOpEiEvPT3_j, .Lfunc_end9-_Z20warp_exchange_kernelILj256ELj4ELj16EN6common18StripedToBlockedOpEiEvPT3_j
                                        ; -- End function
	.section	.AMDGPU.csdata,"",@progbits
; Kernel info:
; codeLenInByte = 196
; NumSgprs: 11
; NumVgprs: 8
; NumAgprs: 0
; TotalNumVgprs: 8
; ScratchSize: 0
; MemoryBound: 0
; FloatMode: 240
; IeeeMode: 1
; LDSByteSize: 4096 bytes/workgroup (compile time only)
; SGPRBlocks: 1
; VGPRBlocks: 0
; NumSGPRsForWavesPerEU: 11
; NumVGPRsForWavesPerEU: 8
; AccumOffset: 8
; Occupancy: 8
; WaveLimiterHint : 0
; COMPUTE_PGM_RSRC2:SCRATCH_EN: 0
; COMPUTE_PGM_RSRC2:USER_SGPR: 2
; COMPUTE_PGM_RSRC2:TRAP_HANDLER: 0
; COMPUTE_PGM_RSRC2:TGID_X_EN: 1
; COMPUTE_PGM_RSRC2:TGID_Y_EN: 0
; COMPUTE_PGM_RSRC2:TGID_Z_EN: 0
; COMPUTE_PGM_RSRC2:TIDIG_COMP_CNT: 0
; COMPUTE_PGM_RSRC3_GFX90A:ACCUM_OFFSET: 1
; COMPUTE_PGM_RSRC3_GFX90A:TG_SPLIT: 0
	.section	.text._Z20warp_exchange_kernelILj256ELj4ELj32EN6common18StripedToBlockedOpEiEvPT3_j,"axG",@progbits,_Z20warp_exchange_kernelILj256ELj4ELj32EN6common18StripedToBlockedOpEiEvPT3_j,comdat
	.protected	_Z20warp_exchange_kernelILj256ELj4ELj32EN6common18StripedToBlockedOpEiEvPT3_j ; -- Begin function _Z20warp_exchange_kernelILj256ELj4ELj32EN6common18StripedToBlockedOpEiEvPT3_j
	.globl	_Z20warp_exchange_kernelILj256ELj4ELj32EN6common18StripedToBlockedOpEiEvPT3_j
	.p2align	8
	.type	_Z20warp_exchange_kernelILj256ELj4ELj32EN6common18StripedToBlockedOpEiEvPT3_j,@function
_Z20warp_exchange_kernelILj256ELj4ELj32EN6common18StripedToBlockedOpEiEvPT3_j: ; @_Z20warp_exchange_kernelILj256ELj4ELj32EN6common18StripedToBlockedOpEiEvPT3_j
; %bb.0:
	s_load_dword s3, s[0:1], 0x8
	v_lshlrev_b32_e32 v2, 2, v0
	v_or_b32_e32 v5, 1, v2
	v_or_b32_e32 v6, 2, v2
	;; [unrolled: 1-line block ×3, first 2 shown]
	s_waitcnt lgkmcnt(0)
	s_cmp_eq_u32 s3, 0
	s_cbranch_scc1 .LBB10_3
; %bb.1:
	v_mbcnt_lo_u32_b32 v1, -1, 0
	v_mbcnt_hi_u32_b32 v1, -1, v1
	v_and_b32_e32 v1, 31, v1
	v_lshlrev_b32_e32 v0, 4, v0
	v_lshlrev_b32_e32 v3, 2, v1
	s_movk_i32 s4, 0xe00
	v_and_or_b32 v0, v0, s4, v3
	v_mul_u32_u24_e32 v1, 12, v1
	v_add_u32_e32 v1, v0, v1
	v_mov_b32_e32 v4, v2
.LBB10_2:                               ; =>This Inner Loop Header: Depth=1
	s_waitcnt lgkmcnt(0)
	ds_write2_b32 v0, v4, v5 offset1:32
	ds_write2_b32 v0, v6, v7 offset0:64 offset1:96
	; wave barrier
	ds_read_b128 v[4:7], v1
	s_add_i32 s3, s3, -1
	s_cmp_lg_u32 s3, 0
	; wave barrier
	s_cbranch_scc1 .LBB10_2
	s_branch .LBB10_4
.LBB10_3:
	v_mov_b32_e32 v3, v5
	v_mov_b32_e32 v4, v6
	;; [unrolled: 1-line block ×3, first 2 shown]
	v_mov_b64_e32 v[6:7], v[4:5]
	v_mov_b64_e32 v[4:5], v[2:3]
.LBB10_4:
	s_load_dwordx2 s[0:1], s[0:1], 0x0
	v_lshl_or_b32 v0, s2, 10, v2
	v_mov_b32_e32 v1, 0
	s_waitcnt lgkmcnt(0)
	v_lshl_add_u64 v[0:1], v[0:1], 2, s[0:1]
	global_store_dwordx4 v[0:1], v[4:7], off
	s_endpgm
	.section	.rodata,"a",@progbits
	.p2align	6, 0x0
	.amdhsa_kernel _Z20warp_exchange_kernelILj256ELj4ELj32EN6common18StripedToBlockedOpEiEvPT3_j
		.amdhsa_group_segment_fixed_size 4096
		.amdhsa_private_segment_fixed_size 0
		.amdhsa_kernarg_size 12
		.amdhsa_user_sgpr_count 2
		.amdhsa_user_sgpr_dispatch_ptr 0
		.amdhsa_user_sgpr_queue_ptr 0
		.amdhsa_user_sgpr_kernarg_segment_ptr 1
		.amdhsa_user_sgpr_dispatch_id 0
		.amdhsa_user_sgpr_kernarg_preload_length 0
		.amdhsa_user_sgpr_kernarg_preload_offset 0
		.amdhsa_user_sgpr_private_segment_size 0
		.amdhsa_uses_dynamic_stack 0
		.amdhsa_enable_private_segment 0
		.amdhsa_system_sgpr_workgroup_id_x 1
		.amdhsa_system_sgpr_workgroup_id_y 0
		.amdhsa_system_sgpr_workgroup_id_z 0
		.amdhsa_system_sgpr_workgroup_info 0
		.amdhsa_system_vgpr_workitem_id 0
		.amdhsa_next_free_vgpr 8
		.amdhsa_next_free_sgpr 5
		.amdhsa_accum_offset 8
		.amdhsa_reserve_vcc 0
		.amdhsa_float_round_mode_32 0
		.amdhsa_float_round_mode_16_64 0
		.amdhsa_float_denorm_mode_32 3
		.amdhsa_float_denorm_mode_16_64 3
		.amdhsa_dx10_clamp 1
		.amdhsa_ieee_mode 1
		.amdhsa_fp16_overflow 0
		.amdhsa_tg_split 0
		.amdhsa_exception_fp_ieee_invalid_op 0
		.amdhsa_exception_fp_denorm_src 0
		.amdhsa_exception_fp_ieee_div_zero 0
		.amdhsa_exception_fp_ieee_overflow 0
		.amdhsa_exception_fp_ieee_underflow 0
		.amdhsa_exception_fp_ieee_inexact 0
		.amdhsa_exception_int_div_zero 0
	.end_amdhsa_kernel
	.section	.text._Z20warp_exchange_kernelILj256ELj4ELj32EN6common18StripedToBlockedOpEiEvPT3_j,"axG",@progbits,_Z20warp_exchange_kernelILj256ELj4ELj32EN6common18StripedToBlockedOpEiEvPT3_j,comdat
.Lfunc_end10:
	.size	_Z20warp_exchange_kernelILj256ELj4ELj32EN6common18StripedToBlockedOpEiEvPT3_j, .Lfunc_end10-_Z20warp_exchange_kernelILj256ELj4ELj32EN6common18StripedToBlockedOpEiEvPT3_j
                                        ; -- End function
	.section	.AMDGPU.csdata,"",@progbits
; Kernel info:
; codeLenInByte = 196
; NumSgprs: 11
; NumVgprs: 8
; NumAgprs: 0
; TotalNumVgprs: 8
; ScratchSize: 0
; MemoryBound: 0
; FloatMode: 240
; IeeeMode: 1
; LDSByteSize: 4096 bytes/workgroup (compile time only)
; SGPRBlocks: 1
; VGPRBlocks: 0
; NumSGPRsForWavesPerEU: 11
; NumVGPRsForWavesPerEU: 8
; AccumOffset: 8
; Occupancy: 8
; WaveLimiterHint : 0
; COMPUTE_PGM_RSRC2:SCRATCH_EN: 0
; COMPUTE_PGM_RSRC2:USER_SGPR: 2
; COMPUTE_PGM_RSRC2:TRAP_HANDLER: 0
; COMPUTE_PGM_RSRC2:TGID_X_EN: 1
; COMPUTE_PGM_RSRC2:TGID_Y_EN: 0
; COMPUTE_PGM_RSRC2:TGID_Z_EN: 0
; COMPUTE_PGM_RSRC2:TIDIG_COMP_CNT: 0
; COMPUTE_PGM_RSRC3_GFX90A:ACCUM_OFFSET: 1
; COMPUTE_PGM_RSRC3_GFX90A:TG_SPLIT: 0
	.section	.text._Z20warp_exchange_kernelILj256ELj16ELj16EN6common18StripedToBlockedOpEiEvPT3_j,"axG",@progbits,_Z20warp_exchange_kernelILj256ELj16ELj16EN6common18StripedToBlockedOpEiEvPT3_j,comdat
	.protected	_Z20warp_exchange_kernelILj256ELj16ELj16EN6common18StripedToBlockedOpEiEvPT3_j ; -- Begin function _Z20warp_exchange_kernelILj256ELj16ELj16EN6common18StripedToBlockedOpEiEvPT3_j
	.globl	_Z20warp_exchange_kernelILj256ELj16ELj16EN6common18StripedToBlockedOpEiEvPT3_j
	.p2align	8
	.type	_Z20warp_exchange_kernelILj256ELj16ELj16EN6common18StripedToBlockedOpEiEvPT3_j,@function
_Z20warp_exchange_kernelILj256ELj16ELj16EN6common18StripedToBlockedOpEiEvPT3_j: ; @_Z20warp_exchange_kernelILj256ELj16ELj16EN6common18StripedToBlockedOpEiEvPT3_j
; %bb.0:
	s_load_dword s3, s[0:1], 0x8
	v_lshlrev_b32_e32 v18, 4, v0
	v_or_b32_e32 v15, 1, v18
	v_or_b32_e32 v17, 3, v18
	;; [unrolled: 1-line block ×14, first 2 shown]
	s_waitcnt lgkmcnt(0)
	s_cmp_eq_u32 s3, 0
	v_or_b32_e32 v4, 14, v18
	s_cbranch_scc1 .LBB11_3
; %bb.1:
	v_mbcnt_lo_u32_b32 v1, -1, 0
	v_mbcnt_hi_u32_b32 v1, -1, v1
	v_and_b32_e32 v1, 15, v1
	v_lshlrev_b32_e32 v0, 6, v0
	v_lshlrev_b32_e32 v14, 2, v1
	s_movk_i32 s4, 0x3c00
	v_and_or_b32 v0, v0, s4, v14
	v_mul_u32_u24_e32 v1, 60, v1
	v_add_u32_e32 v1, v0, v1
	v_mov_b32_e32 v14, v18
.LBB11_2:                               ; =>This Inner Loop Header: Depth=1
	s_waitcnt lgkmcnt(3)
	ds_write2_b32 v0, v14, v15 offset1:16
	ds_write2_b32 v0, v16, v17 offset0:32 offset1:48
	s_waitcnt lgkmcnt(4)
	ds_write2_b32 v0, v10, v11 offset0:64 offset1:80
	ds_write2_b32 v0, v12, v13 offset0:96 offset1:112
	s_waitcnt lgkmcnt(5)
	ds_write2_b32 v0, v6, v7 offset0:128 offset1:144
	;; [unrolled: 3-line block ×3, first 2 shown]
	ds_write2_b32 v0, v4, v5 offset0:224 offset1:240
	; wave barrier
	ds_read_b128 v[14:17], v1
	ds_read_b128 v[10:13], v1 offset:16
	ds_read_b128 v[6:9], v1 offset:32
	;; [unrolled: 1-line block ×3, first 2 shown]
	s_add_i32 s3, s3, -1
	s_cmp_lg_u32 s3, 0
	; wave barrier
	s_cbranch_scc1 .LBB11_2
	s_branch .LBB11_4
.LBB11_3:
	v_mov_b32_e32 v19, v15
	v_mov_b64_e32 v[14:15], v[18:19]
.LBB11_4:
	s_load_dwordx2 s[0:1], s[0:1], 0x0
	v_lshl_or_b32 v0, s2, 12, v18
	v_mov_b32_e32 v1, 0
	s_waitcnt lgkmcnt(0)
	v_lshl_add_u64 v[0:1], v[0:1], 2, s[0:1]
	global_store_dwordx4 v[0:1], v[14:17], off
	global_store_dwordx4 v[0:1], v[10:13], off offset:16
	global_store_dwordx4 v[0:1], v[6:9], off offset:32
	;; [unrolled: 1-line block ×3, first 2 shown]
	s_endpgm
	.section	.rodata,"a",@progbits
	.p2align	6, 0x0
	.amdhsa_kernel _Z20warp_exchange_kernelILj256ELj16ELj16EN6common18StripedToBlockedOpEiEvPT3_j
		.amdhsa_group_segment_fixed_size 16384
		.amdhsa_private_segment_fixed_size 0
		.amdhsa_kernarg_size 12
		.amdhsa_user_sgpr_count 2
		.amdhsa_user_sgpr_dispatch_ptr 0
		.amdhsa_user_sgpr_queue_ptr 0
		.amdhsa_user_sgpr_kernarg_segment_ptr 1
		.amdhsa_user_sgpr_dispatch_id 0
		.amdhsa_user_sgpr_kernarg_preload_length 0
		.amdhsa_user_sgpr_kernarg_preload_offset 0
		.amdhsa_user_sgpr_private_segment_size 0
		.amdhsa_uses_dynamic_stack 0
		.amdhsa_enable_private_segment 0
		.amdhsa_system_sgpr_workgroup_id_x 1
		.amdhsa_system_sgpr_workgroup_id_y 0
		.amdhsa_system_sgpr_workgroup_id_z 0
		.amdhsa_system_sgpr_workgroup_info 0
		.amdhsa_system_vgpr_workitem_id 0
		.amdhsa_next_free_vgpr 20
		.amdhsa_next_free_sgpr 5
		.amdhsa_accum_offset 20
		.amdhsa_reserve_vcc 0
		.amdhsa_float_round_mode_32 0
		.amdhsa_float_round_mode_16_64 0
		.amdhsa_float_denorm_mode_32 3
		.amdhsa_float_denorm_mode_16_64 3
		.amdhsa_dx10_clamp 1
		.amdhsa_ieee_mode 1
		.amdhsa_fp16_overflow 0
		.amdhsa_tg_split 0
		.amdhsa_exception_fp_ieee_invalid_op 0
		.amdhsa_exception_fp_denorm_src 0
		.amdhsa_exception_fp_ieee_div_zero 0
		.amdhsa_exception_fp_ieee_overflow 0
		.amdhsa_exception_fp_ieee_underflow 0
		.amdhsa_exception_fp_ieee_inexact 0
		.amdhsa_exception_int_div_zero 0
	.end_amdhsa_kernel
	.section	.text._Z20warp_exchange_kernelILj256ELj16ELj16EN6common18StripedToBlockedOpEiEvPT3_j,"axG",@progbits,_Z20warp_exchange_kernelILj256ELj16ELj16EN6common18StripedToBlockedOpEiEvPT3_j,comdat
.Lfunc_end11:
	.size	_Z20warp_exchange_kernelILj256ELj16ELj16EN6common18StripedToBlockedOpEiEvPT3_j, .Lfunc_end11-_Z20warp_exchange_kernelILj256ELj16ELj16EN6common18StripedToBlockedOpEiEvPT3_j
                                        ; -- End function
	.section	.AMDGPU.csdata,"",@progbits
; Kernel info:
; codeLenInByte = 340
; NumSgprs: 11
; NumVgprs: 20
; NumAgprs: 0
; TotalNumVgprs: 20
; ScratchSize: 0
; MemoryBound: 0
; FloatMode: 240
; IeeeMode: 1
; LDSByteSize: 16384 bytes/workgroup (compile time only)
; SGPRBlocks: 1
; VGPRBlocks: 2
; NumSGPRsForWavesPerEU: 11
; NumVGPRsForWavesPerEU: 20
; AccumOffset: 20
; Occupancy: 4
; WaveLimiterHint : 0
; COMPUTE_PGM_RSRC2:SCRATCH_EN: 0
; COMPUTE_PGM_RSRC2:USER_SGPR: 2
; COMPUTE_PGM_RSRC2:TRAP_HANDLER: 0
; COMPUTE_PGM_RSRC2:TGID_X_EN: 1
; COMPUTE_PGM_RSRC2:TGID_Y_EN: 0
; COMPUTE_PGM_RSRC2:TGID_Z_EN: 0
; COMPUTE_PGM_RSRC2:TIDIG_COMP_CNT: 0
; COMPUTE_PGM_RSRC3_GFX90A:ACCUM_OFFSET: 4
; COMPUTE_PGM_RSRC3_GFX90A:TG_SPLIT: 0
	.section	.text._Z20warp_exchange_kernelILj256ELj16ELj32EN6common18StripedToBlockedOpEiEvPT3_j,"axG",@progbits,_Z20warp_exchange_kernelILj256ELj16ELj32EN6common18StripedToBlockedOpEiEvPT3_j,comdat
	.protected	_Z20warp_exchange_kernelILj256ELj16ELj32EN6common18StripedToBlockedOpEiEvPT3_j ; -- Begin function _Z20warp_exchange_kernelILj256ELj16ELj32EN6common18StripedToBlockedOpEiEvPT3_j
	.globl	_Z20warp_exchange_kernelILj256ELj16ELj32EN6common18StripedToBlockedOpEiEvPT3_j
	.p2align	8
	.type	_Z20warp_exchange_kernelILj256ELj16ELj32EN6common18StripedToBlockedOpEiEvPT3_j,@function
_Z20warp_exchange_kernelILj256ELj16ELj32EN6common18StripedToBlockedOpEiEvPT3_j: ; @_Z20warp_exchange_kernelILj256ELj16ELj32EN6common18StripedToBlockedOpEiEvPT3_j
; %bb.0:
	s_load_dword s3, s[0:1], 0x8
	v_lshlrev_b32_e32 v18, 4, v0
	v_or_b32_e32 v15, 1, v18
	v_or_b32_e32 v17, 3, v18
	;; [unrolled: 1-line block ×14, first 2 shown]
	s_waitcnt lgkmcnt(0)
	s_cmp_eq_u32 s3, 0
	v_or_b32_e32 v4, 14, v18
	s_cbranch_scc1 .LBB12_3
; %bb.1:
	v_mbcnt_lo_u32_b32 v1, -1, 0
	v_mbcnt_hi_u32_b32 v1, -1, v1
	v_and_b32_e32 v1, 31, v1
	v_lshlrev_b32_e32 v0, 6, v0
	v_lshlrev_b32_e32 v14, 2, v1
	s_movk_i32 s4, 0x3800
	v_and_or_b32 v0, v0, s4, v14
	v_mul_u32_u24_e32 v1, 60, v1
	v_add_u32_e32 v1, v0, v1
	v_add_u32_e32 v19, 0x400, v0
	v_mov_b32_e32 v14, v18
.LBB12_2:                               ; =>This Inner Loop Header: Depth=1
	s_waitcnt lgkmcnt(3)
	ds_write2_b32 v0, v14, v15 offset1:32
	ds_write2_b32 v0, v16, v17 offset0:64 offset1:96
	s_waitcnt lgkmcnt(4)
	ds_write2_b32 v0, v10, v11 offset0:128 offset1:160
	ds_write2_b32 v0, v12, v13 offset0:192 offset1:224
	s_waitcnt lgkmcnt(5)
	ds_write2_b32 v19, v6, v7 offset1:32
	ds_write2_b32 v19, v8, v9 offset0:64 offset1:96
	s_waitcnt lgkmcnt(6)
	ds_write2_b32 v19, v2, v3 offset0:128 offset1:160
	ds_write2_b32 v19, v4, v5 offset0:192 offset1:224
	; wave barrier
	ds_read_b128 v[14:17], v1
	ds_read_b128 v[10:13], v1 offset:16
	ds_read_b128 v[6:9], v1 offset:32
	ds_read_b128 v[2:5], v1 offset:48
	s_add_i32 s3, s3, -1
	s_cmp_lg_u32 s3, 0
	; wave barrier
	s_cbranch_scc1 .LBB12_2
	s_branch .LBB12_4
.LBB12_3:
	v_mov_b32_e32 v19, v15
	v_mov_b64_e32 v[14:15], v[18:19]
.LBB12_4:
	s_load_dwordx2 s[0:1], s[0:1], 0x0
	v_lshl_or_b32 v0, s2, 12, v18
	v_mov_b32_e32 v1, 0
	s_waitcnt lgkmcnt(0)
	v_lshl_add_u64 v[0:1], v[0:1], 2, s[0:1]
	global_store_dwordx4 v[0:1], v[14:17], off
	global_store_dwordx4 v[0:1], v[10:13], off offset:16
	global_store_dwordx4 v[0:1], v[6:9], off offset:32
	;; [unrolled: 1-line block ×3, first 2 shown]
	s_endpgm
	.section	.rodata,"a",@progbits
	.p2align	6, 0x0
	.amdhsa_kernel _Z20warp_exchange_kernelILj256ELj16ELj32EN6common18StripedToBlockedOpEiEvPT3_j
		.amdhsa_group_segment_fixed_size 16384
		.amdhsa_private_segment_fixed_size 0
		.amdhsa_kernarg_size 12
		.amdhsa_user_sgpr_count 2
		.amdhsa_user_sgpr_dispatch_ptr 0
		.amdhsa_user_sgpr_queue_ptr 0
		.amdhsa_user_sgpr_kernarg_segment_ptr 1
		.amdhsa_user_sgpr_dispatch_id 0
		.amdhsa_user_sgpr_kernarg_preload_length 0
		.amdhsa_user_sgpr_kernarg_preload_offset 0
		.amdhsa_user_sgpr_private_segment_size 0
		.amdhsa_uses_dynamic_stack 0
		.amdhsa_enable_private_segment 0
		.amdhsa_system_sgpr_workgroup_id_x 1
		.amdhsa_system_sgpr_workgroup_id_y 0
		.amdhsa_system_sgpr_workgroup_id_z 0
		.amdhsa_system_sgpr_workgroup_info 0
		.amdhsa_system_vgpr_workitem_id 0
		.amdhsa_next_free_vgpr 20
		.amdhsa_next_free_sgpr 5
		.amdhsa_accum_offset 20
		.amdhsa_reserve_vcc 0
		.amdhsa_float_round_mode_32 0
		.amdhsa_float_round_mode_16_64 0
		.amdhsa_float_denorm_mode_32 3
		.amdhsa_float_denorm_mode_16_64 3
		.amdhsa_dx10_clamp 1
		.amdhsa_ieee_mode 1
		.amdhsa_fp16_overflow 0
		.amdhsa_tg_split 0
		.amdhsa_exception_fp_ieee_invalid_op 0
		.amdhsa_exception_fp_denorm_src 0
		.amdhsa_exception_fp_ieee_div_zero 0
		.amdhsa_exception_fp_ieee_overflow 0
		.amdhsa_exception_fp_ieee_underflow 0
		.amdhsa_exception_fp_ieee_inexact 0
		.amdhsa_exception_int_div_zero 0
	.end_amdhsa_kernel
	.section	.text._Z20warp_exchange_kernelILj256ELj16ELj32EN6common18StripedToBlockedOpEiEvPT3_j,"axG",@progbits,_Z20warp_exchange_kernelILj256ELj16ELj32EN6common18StripedToBlockedOpEiEvPT3_j,comdat
.Lfunc_end12:
	.size	_Z20warp_exchange_kernelILj256ELj16ELj32EN6common18StripedToBlockedOpEiEvPT3_j, .Lfunc_end12-_Z20warp_exchange_kernelILj256ELj16ELj32EN6common18StripedToBlockedOpEiEvPT3_j
                                        ; -- End function
	.section	.AMDGPU.csdata,"",@progbits
; Kernel info:
; codeLenInByte = 348
; NumSgprs: 11
; NumVgprs: 20
; NumAgprs: 0
; TotalNumVgprs: 20
; ScratchSize: 0
; MemoryBound: 0
; FloatMode: 240
; IeeeMode: 1
; LDSByteSize: 16384 bytes/workgroup (compile time only)
; SGPRBlocks: 1
; VGPRBlocks: 2
; NumSGPRsForWavesPerEU: 11
; NumVGPRsForWavesPerEU: 20
; AccumOffset: 20
; Occupancy: 4
; WaveLimiterHint : 0
; COMPUTE_PGM_RSRC2:SCRATCH_EN: 0
; COMPUTE_PGM_RSRC2:USER_SGPR: 2
; COMPUTE_PGM_RSRC2:TRAP_HANDLER: 0
; COMPUTE_PGM_RSRC2:TGID_X_EN: 1
; COMPUTE_PGM_RSRC2:TGID_Y_EN: 0
; COMPUTE_PGM_RSRC2:TGID_Z_EN: 0
; COMPUTE_PGM_RSRC2:TIDIG_COMP_CNT: 0
; COMPUTE_PGM_RSRC3_GFX90A:ACCUM_OFFSET: 4
; COMPUTE_PGM_RSRC3_GFX90A:TG_SPLIT: 0
	.section	.text._Z20warp_exchange_kernelILj256ELj32ELj32EN6common18StripedToBlockedOpEiEvPT3_j,"axG",@progbits,_Z20warp_exchange_kernelILj256ELj32ELj32EN6common18StripedToBlockedOpEiEvPT3_j,comdat
	.protected	_Z20warp_exchange_kernelILj256ELj32ELj32EN6common18StripedToBlockedOpEiEvPT3_j ; -- Begin function _Z20warp_exchange_kernelILj256ELj32ELj32EN6common18StripedToBlockedOpEiEvPT3_j
	.globl	_Z20warp_exchange_kernelILj256ELj32ELj32EN6common18StripedToBlockedOpEiEvPT3_j
	.p2align	8
	.type	_Z20warp_exchange_kernelILj256ELj32ELj32EN6common18StripedToBlockedOpEiEvPT3_j,@function
_Z20warp_exchange_kernelILj256ELj32ELj32EN6common18StripedToBlockedOpEiEvPT3_j: ; @_Z20warp_exchange_kernelILj256ELj32ELj32EN6common18StripedToBlockedOpEiEvPT3_j
; %bb.0:
	s_load_dword s3, s[0:1], 0x8
	v_lshlrev_b32_e32 v34, 5, v0
	v_or_b32_e32 v15, 1, v34
	v_or_b32_e32 v17, 3, v34
	;; [unrolled: 1-line block ×30, first 2 shown]
	s_waitcnt lgkmcnt(0)
	s_cmp_eq_u32 s3, 0
	v_or_b32_e32 v32, 30, v34
	s_cbranch_scc1 .LBB13_3
; %bb.1:
	v_mbcnt_lo_u32_b32 v1, -1, 0
	v_mbcnt_hi_u32_b32 v1, -1, v1
	v_and_b32_e32 v1, 31, v1
	v_lshlrev_b32_e32 v0, 7, v0
	v_lshlrev_b32_e32 v14, 2, v1
	s_movk_i32 s4, 0x7000
	v_and_or_b32 v0, v0, s4, v14
	v_mul_u32_u24_e32 v1, 0x7c, v1
	v_add_u32_e32 v1, v0, v1
	v_add_u32_e32 v35, 0x400, v0
	;; [unrolled: 1-line block ×4, first 2 shown]
	v_mov_b32_e32 v14, v34
.LBB13_2:                               ; =>This Inner Loop Header: Depth=1
	s_waitcnt lgkmcnt(7)
	ds_write2_b32 v0, v14, v15 offset1:32
	ds_write2_b32 v0, v16, v17 offset0:64 offset1:96
	s_waitcnt lgkmcnt(8)
	ds_write2_b32 v0, v10, v11 offset0:128 offset1:160
	ds_write2_b32 v0, v12, v13 offset0:192 offset1:224
	s_waitcnt lgkmcnt(9)
	ds_write2_b32 v35, v6, v7 offset1:32
	ds_write2_b32 v35, v8, v9 offset0:64 offset1:96
	s_waitcnt lgkmcnt(10)
	ds_write2_b32 v35, v2, v3 offset0:128 offset1:160
	ds_write2_b32 v35, v4, v5 offset0:192 offset1:224
	;; [unrolled: 6-line block ×4, first 2 shown]
	; wave barrier
	ds_read_b128 v[14:17], v1
	ds_read_b128 v[10:13], v1 offset:16
	ds_read_b128 v[6:9], v1 offset:32
	;; [unrolled: 1-line block ×7, first 2 shown]
	s_add_i32 s3, s3, -1
	s_cmp_lg_u32 s3, 0
	; wave barrier
	s_cbranch_scc1 .LBB13_2
	s_branch .LBB13_4
.LBB13_3:
	v_mov_b32_e32 v35, v15
	v_mov_b64_e32 v[14:15], v[34:35]
.LBB13_4:
	s_load_dwordx2 s[0:1], s[0:1], 0x0
	v_lshl_or_b32 v0, s2, 13, v34
	v_mov_b32_e32 v1, 0
	s_waitcnt lgkmcnt(0)
	v_lshl_add_u64 v[0:1], v[0:1], 2, s[0:1]
	global_store_dwordx4 v[0:1], v[14:17], off
	global_store_dwordx4 v[0:1], v[10:13], off offset:16
	global_store_dwordx4 v[0:1], v[6:9], off offset:32
	;; [unrolled: 1-line block ×7, first 2 shown]
	s_endpgm
	.section	.rodata,"a",@progbits
	.p2align	6, 0x0
	.amdhsa_kernel _Z20warp_exchange_kernelILj256ELj32ELj32EN6common18StripedToBlockedOpEiEvPT3_j
		.amdhsa_group_segment_fixed_size 32768
		.amdhsa_private_segment_fixed_size 0
		.amdhsa_kernarg_size 12
		.amdhsa_user_sgpr_count 2
		.amdhsa_user_sgpr_dispatch_ptr 0
		.amdhsa_user_sgpr_queue_ptr 0
		.amdhsa_user_sgpr_kernarg_segment_ptr 1
		.amdhsa_user_sgpr_dispatch_id 0
		.amdhsa_user_sgpr_kernarg_preload_length 0
		.amdhsa_user_sgpr_kernarg_preload_offset 0
		.amdhsa_user_sgpr_private_segment_size 0
		.amdhsa_uses_dynamic_stack 0
		.amdhsa_enable_private_segment 0
		.amdhsa_system_sgpr_workgroup_id_x 1
		.amdhsa_system_sgpr_workgroup_id_y 0
		.amdhsa_system_sgpr_workgroup_id_z 0
		.amdhsa_system_sgpr_workgroup_info 0
		.amdhsa_system_vgpr_workitem_id 0
		.amdhsa_next_free_vgpr 38
		.amdhsa_next_free_sgpr 5
		.amdhsa_accum_offset 40
		.amdhsa_reserve_vcc 0
		.amdhsa_float_round_mode_32 0
		.amdhsa_float_round_mode_16_64 0
		.amdhsa_float_denorm_mode_32 3
		.amdhsa_float_denorm_mode_16_64 3
		.amdhsa_dx10_clamp 1
		.amdhsa_ieee_mode 1
		.amdhsa_fp16_overflow 0
		.amdhsa_tg_split 0
		.amdhsa_exception_fp_ieee_invalid_op 0
		.amdhsa_exception_fp_denorm_src 0
		.amdhsa_exception_fp_ieee_div_zero 0
		.amdhsa_exception_fp_ieee_overflow 0
		.amdhsa_exception_fp_ieee_underflow 0
		.amdhsa_exception_fp_ieee_inexact 0
		.amdhsa_exception_int_div_zero 0
	.end_amdhsa_kernel
	.section	.text._Z20warp_exchange_kernelILj256ELj32ELj32EN6common18StripedToBlockedOpEiEvPT3_j,"axG",@progbits,_Z20warp_exchange_kernelILj256ELj32ELj32EN6common18StripedToBlockedOpEiEvPT3_j,comdat
.Lfunc_end13:
	.size	_Z20warp_exchange_kernelILj256ELj32ELj32EN6common18StripedToBlockedOpEiEvPT3_j, .Lfunc_end13-_Z20warp_exchange_kernelILj256ELj32ELj32EN6common18StripedToBlockedOpEiEvPT3_j
                                        ; -- End function
	.section	.AMDGPU.csdata,"",@progbits
; Kernel info:
; codeLenInByte = 576
; NumSgprs: 11
; NumVgprs: 38
; NumAgprs: 0
; TotalNumVgprs: 38
; ScratchSize: 0
; MemoryBound: 0
; FloatMode: 240
; IeeeMode: 1
; LDSByteSize: 32768 bytes/workgroup (compile time only)
; SGPRBlocks: 1
; VGPRBlocks: 4
; NumSGPRsForWavesPerEU: 11
; NumVGPRsForWavesPerEU: 38
; AccumOffset: 40
; Occupancy: 2
; WaveLimiterHint : 0
; COMPUTE_PGM_RSRC2:SCRATCH_EN: 0
; COMPUTE_PGM_RSRC2:USER_SGPR: 2
; COMPUTE_PGM_RSRC2:TRAP_HANDLER: 0
; COMPUTE_PGM_RSRC2:TGID_X_EN: 1
; COMPUTE_PGM_RSRC2:TGID_Y_EN: 0
; COMPUTE_PGM_RSRC2:TGID_Z_EN: 0
; COMPUTE_PGM_RSRC2:TIDIG_COMP_CNT: 0
; COMPUTE_PGM_RSRC3_GFX90A:ACCUM_OFFSET: 9
; COMPUTE_PGM_RSRC3_GFX90A:TG_SPLIT: 0
	.section	.text._Z20warp_exchange_kernelILj256ELj1ELj16EN6common25BlockedToStripedShuffleOpEiEvPT3_j,"axG",@progbits,_Z20warp_exchange_kernelILj256ELj1ELj16EN6common25BlockedToStripedShuffleOpEiEvPT3_j,comdat
	.protected	_Z20warp_exchange_kernelILj256ELj1ELj16EN6common25BlockedToStripedShuffleOpEiEvPT3_j ; -- Begin function _Z20warp_exchange_kernelILj256ELj1ELj16EN6common25BlockedToStripedShuffleOpEiEvPT3_j
	.globl	_Z20warp_exchange_kernelILj256ELj1ELj16EN6common25BlockedToStripedShuffleOpEiEvPT3_j
	.p2align	8
	.type	_Z20warp_exchange_kernelILj256ELj1ELj16EN6common25BlockedToStripedShuffleOpEiEvPT3_j,@function
_Z20warp_exchange_kernelILj256ELj1ELj16EN6common25BlockedToStripedShuffleOpEiEvPT3_j: ; @_Z20warp_exchange_kernelILj256ELj1ELj16EN6common25BlockedToStripedShuffleOpEiEvPT3_j
; %bb.0:
	s_load_dword s3, s[0:1], 0x8
	s_waitcnt lgkmcnt(0)
	s_cmp_eq_u32 s3, 0
	s_cbranch_scc1 .LBB14_3
; %bb.1:
	v_mbcnt_lo_u32_b32 v1, -1, 0
	v_mbcnt_hi_u32_b32 v1, -1, v1
	v_lshlrev_b32_e32 v2, 2, v1
	v_mov_b32_e32 v1, v0
.LBB14_2:                               ; =>This Inner Loop Header: Depth=1
	s_waitcnt lgkmcnt(0)
	ds_bpermute_b32 v1, v2, v1
	s_add_i32 s3, s3, -1
	s_cmp_lg_u32 s3, 0
	; wave barrier
	s_cbranch_scc1 .LBB14_2
	s_branch .LBB14_4
.LBB14_3:
	v_mov_b32_e32 v1, v0
.LBB14_4:
	s_load_dwordx2 s[0:1], s[0:1], 0x0
	v_lshl_or_b32 v2, s2, 8, v0
	v_mov_b32_e32 v3, 0
	s_waitcnt lgkmcnt(0)
	v_lshl_add_u64 v[2:3], v[2:3], 2, s[0:1]
	global_store_dword v[2:3], v1, off
	s_endpgm
	.section	.rodata,"a",@progbits
	.p2align	6, 0x0
	.amdhsa_kernel _Z20warp_exchange_kernelILj256ELj1ELj16EN6common25BlockedToStripedShuffleOpEiEvPT3_j
		.amdhsa_group_segment_fixed_size 0
		.amdhsa_private_segment_fixed_size 0
		.amdhsa_kernarg_size 12
		.amdhsa_user_sgpr_count 2
		.amdhsa_user_sgpr_dispatch_ptr 0
		.amdhsa_user_sgpr_queue_ptr 0
		.amdhsa_user_sgpr_kernarg_segment_ptr 1
		.amdhsa_user_sgpr_dispatch_id 0
		.amdhsa_user_sgpr_kernarg_preload_length 0
		.amdhsa_user_sgpr_kernarg_preload_offset 0
		.amdhsa_user_sgpr_private_segment_size 0
		.amdhsa_uses_dynamic_stack 0
		.amdhsa_enable_private_segment 0
		.amdhsa_system_sgpr_workgroup_id_x 1
		.amdhsa_system_sgpr_workgroup_id_y 0
		.amdhsa_system_sgpr_workgroup_id_z 0
		.amdhsa_system_sgpr_workgroup_info 0
		.amdhsa_system_vgpr_workitem_id 0
		.amdhsa_next_free_vgpr 4
		.amdhsa_next_free_sgpr 4
		.amdhsa_accum_offset 4
		.amdhsa_reserve_vcc 0
		.amdhsa_float_round_mode_32 0
		.amdhsa_float_round_mode_16_64 0
		.amdhsa_float_denorm_mode_32 3
		.amdhsa_float_denorm_mode_16_64 3
		.amdhsa_dx10_clamp 1
		.amdhsa_ieee_mode 1
		.amdhsa_fp16_overflow 0
		.amdhsa_tg_split 0
		.amdhsa_exception_fp_ieee_invalid_op 0
		.amdhsa_exception_fp_denorm_src 0
		.amdhsa_exception_fp_ieee_div_zero 0
		.amdhsa_exception_fp_ieee_overflow 0
		.amdhsa_exception_fp_ieee_underflow 0
		.amdhsa_exception_fp_ieee_inexact 0
		.amdhsa_exception_int_div_zero 0
	.end_amdhsa_kernel
	.section	.text._Z20warp_exchange_kernelILj256ELj1ELj16EN6common25BlockedToStripedShuffleOpEiEvPT3_j,"axG",@progbits,_Z20warp_exchange_kernelILj256ELj1ELj16EN6common25BlockedToStripedShuffleOpEiEvPT3_j,comdat
.Lfunc_end14:
	.size	_Z20warp_exchange_kernelILj256ELj1ELj16EN6common25BlockedToStripedShuffleOpEiEvPT3_j, .Lfunc_end14-_Z20warp_exchange_kernelILj256ELj1ELj16EN6common25BlockedToStripedShuffleOpEiEvPT3_j
                                        ; -- End function
	.section	.AMDGPU.csdata,"",@progbits
; Kernel info:
; codeLenInByte = 120
; NumSgprs: 10
; NumVgprs: 4
; NumAgprs: 0
; TotalNumVgprs: 4
; ScratchSize: 0
; MemoryBound: 0
; FloatMode: 240
; IeeeMode: 1
; LDSByteSize: 0 bytes/workgroup (compile time only)
; SGPRBlocks: 1
; VGPRBlocks: 0
; NumSGPRsForWavesPerEU: 10
; NumVGPRsForWavesPerEU: 4
; AccumOffset: 4
; Occupancy: 8
; WaveLimiterHint : 0
; COMPUTE_PGM_RSRC2:SCRATCH_EN: 0
; COMPUTE_PGM_RSRC2:USER_SGPR: 2
; COMPUTE_PGM_RSRC2:TRAP_HANDLER: 0
; COMPUTE_PGM_RSRC2:TGID_X_EN: 1
; COMPUTE_PGM_RSRC2:TGID_Y_EN: 0
; COMPUTE_PGM_RSRC2:TGID_Z_EN: 0
; COMPUTE_PGM_RSRC2:TIDIG_COMP_CNT: 0
; COMPUTE_PGM_RSRC3_GFX90A:ACCUM_OFFSET: 0
; COMPUTE_PGM_RSRC3_GFX90A:TG_SPLIT: 0
	.section	.text._Z20warp_exchange_kernelILj256ELj1ELj32EN6common25BlockedToStripedShuffleOpEiEvPT3_j,"axG",@progbits,_Z20warp_exchange_kernelILj256ELj1ELj32EN6common25BlockedToStripedShuffleOpEiEvPT3_j,comdat
	.protected	_Z20warp_exchange_kernelILj256ELj1ELj32EN6common25BlockedToStripedShuffleOpEiEvPT3_j ; -- Begin function _Z20warp_exchange_kernelILj256ELj1ELj32EN6common25BlockedToStripedShuffleOpEiEvPT3_j
	.globl	_Z20warp_exchange_kernelILj256ELj1ELj32EN6common25BlockedToStripedShuffleOpEiEvPT3_j
	.p2align	8
	.type	_Z20warp_exchange_kernelILj256ELj1ELj32EN6common25BlockedToStripedShuffleOpEiEvPT3_j,@function
_Z20warp_exchange_kernelILj256ELj1ELj32EN6common25BlockedToStripedShuffleOpEiEvPT3_j: ; @_Z20warp_exchange_kernelILj256ELj1ELj32EN6common25BlockedToStripedShuffleOpEiEvPT3_j
; %bb.0:
	s_load_dword s3, s[0:1], 0x8
	s_waitcnt lgkmcnt(0)
	s_cmp_eq_u32 s3, 0
	s_cbranch_scc1 .LBB15_3
; %bb.1:
	v_mbcnt_lo_u32_b32 v1, -1, 0
	v_mbcnt_hi_u32_b32 v1, -1, v1
	v_lshlrev_b32_e32 v2, 2, v1
	v_mov_b32_e32 v1, v0
.LBB15_2:                               ; =>This Inner Loop Header: Depth=1
	s_waitcnt lgkmcnt(0)
	ds_bpermute_b32 v1, v2, v1
	s_add_i32 s3, s3, -1
	s_cmp_lg_u32 s3, 0
	; wave barrier
	s_cbranch_scc1 .LBB15_2
	s_branch .LBB15_4
.LBB15_3:
	v_mov_b32_e32 v1, v0
.LBB15_4:
	s_load_dwordx2 s[0:1], s[0:1], 0x0
	v_lshl_or_b32 v2, s2, 8, v0
	v_mov_b32_e32 v3, 0
	s_waitcnt lgkmcnt(0)
	v_lshl_add_u64 v[2:3], v[2:3], 2, s[0:1]
	global_store_dword v[2:3], v1, off
	s_endpgm
	.section	.rodata,"a",@progbits
	.p2align	6, 0x0
	.amdhsa_kernel _Z20warp_exchange_kernelILj256ELj1ELj32EN6common25BlockedToStripedShuffleOpEiEvPT3_j
		.amdhsa_group_segment_fixed_size 0
		.amdhsa_private_segment_fixed_size 0
		.amdhsa_kernarg_size 12
		.amdhsa_user_sgpr_count 2
		.amdhsa_user_sgpr_dispatch_ptr 0
		.amdhsa_user_sgpr_queue_ptr 0
		.amdhsa_user_sgpr_kernarg_segment_ptr 1
		.amdhsa_user_sgpr_dispatch_id 0
		.amdhsa_user_sgpr_kernarg_preload_length 0
		.amdhsa_user_sgpr_kernarg_preload_offset 0
		.amdhsa_user_sgpr_private_segment_size 0
		.amdhsa_uses_dynamic_stack 0
		.amdhsa_enable_private_segment 0
		.amdhsa_system_sgpr_workgroup_id_x 1
		.amdhsa_system_sgpr_workgroup_id_y 0
		.amdhsa_system_sgpr_workgroup_id_z 0
		.amdhsa_system_sgpr_workgroup_info 0
		.amdhsa_system_vgpr_workitem_id 0
		.amdhsa_next_free_vgpr 4
		.amdhsa_next_free_sgpr 4
		.amdhsa_accum_offset 4
		.amdhsa_reserve_vcc 0
		.amdhsa_float_round_mode_32 0
		.amdhsa_float_round_mode_16_64 0
		.amdhsa_float_denorm_mode_32 3
		.amdhsa_float_denorm_mode_16_64 3
		.amdhsa_dx10_clamp 1
		.amdhsa_ieee_mode 1
		.amdhsa_fp16_overflow 0
		.amdhsa_tg_split 0
		.amdhsa_exception_fp_ieee_invalid_op 0
		.amdhsa_exception_fp_denorm_src 0
		.amdhsa_exception_fp_ieee_div_zero 0
		.amdhsa_exception_fp_ieee_overflow 0
		.amdhsa_exception_fp_ieee_underflow 0
		.amdhsa_exception_fp_ieee_inexact 0
		.amdhsa_exception_int_div_zero 0
	.end_amdhsa_kernel
	.section	.text._Z20warp_exchange_kernelILj256ELj1ELj32EN6common25BlockedToStripedShuffleOpEiEvPT3_j,"axG",@progbits,_Z20warp_exchange_kernelILj256ELj1ELj32EN6common25BlockedToStripedShuffleOpEiEvPT3_j,comdat
.Lfunc_end15:
	.size	_Z20warp_exchange_kernelILj256ELj1ELj32EN6common25BlockedToStripedShuffleOpEiEvPT3_j, .Lfunc_end15-_Z20warp_exchange_kernelILj256ELj1ELj32EN6common25BlockedToStripedShuffleOpEiEvPT3_j
                                        ; -- End function
	.section	.AMDGPU.csdata,"",@progbits
; Kernel info:
; codeLenInByte = 120
; NumSgprs: 10
; NumVgprs: 4
; NumAgprs: 0
; TotalNumVgprs: 4
; ScratchSize: 0
; MemoryBound: 0
; FloatMode: 240
; IeeeMode: 1
; LDSByteSize: 0 bytes/workgroup (compile time only)
; SGPRBlocks: 1
; VGPRBlocks: 0
; NumSGPRsForWavesPerEU: 10
; NumVGPRsForWavesPerEU: 4
; AccumOffset: 4
; Occupancy: 8
; WaveLimiterHint : 0
; COMPUTE_PGM_RSRC2:SCRATCH_EN: 0
; COMPUTE_PGM_RSRC2:USER_SGPR: 2
; COMPUTE_PGM_RSRC2:TRAP_HANDLER: 0
; COMPUTE_PGM_RSRC2:TGID_X_EN: 1
; COMPUTE_PGM_RSRC2:TGID_Y_EN: 0
; COMPUTE_PGM_RSRC2:TGID_Z_EN: 0
; COMPUTE_PGM_RSRC2:TIDIG_COMP_CNT: 0
; COMPUTE_PGM_RSRC3_GFX90A:ACCUM_OFFSET: 0
; COMPUTE_PGM_RSRC3_GFX90A:TG_SPLIT: 0
	.section	.text._Z20warp_exchange_kernelILj256ELj4ELj16EN6common25BlockedToStripedShuffleOpEiEvPT3_j,"axG",@progbits,_Z20warp_exchange_kernelILj256ELj4ELj16EN6common25BlockedToStripedShuffleOpEiEvPT3_j,comdat
	.protected	_Z20warp_exchange_kernelILj256ELj4ELj16EN6common25BlockedToStripedShuffleOpEiEvPT3_j ; -- Begin function _Z20warp_exchange_kernelILj256ELj4ELj16EN6common25BlockedToStripedShuffleOpEiEvPT3_j
	.globl	_Z20warp_exchange_kernelILj256ELj4ELj16EN6common25BlockedToStripedShuffleOpEiEvPT3_j
	.p2align	8
	.type	_Z20warp_exchange_kernelILj256ELj4ELj16EN6common25BlockedToStripedShuffleOpEiEvPT3_j,@function
_Z20warp_exchange_kernelILj256ELj4ELj16EN6common25BlockedToStripedShuffleOpEiEvPT3_j: ; @_Z20warp_exchange_kernelILj256ELj4ELj16EN6common25BlockedToStripedShuffleOpEiEvPT3_j
; %bb.0:
	s_load_dword s3, s[0:1], 0x8
	v_lshlrev_b32_e32 v0, 2, v0
	v_or_b32_e32 v1, 1, v0
	v_or_b32_e32 v2, 2, v0
	v_or_b32_e32 v3, 3, v0
	s_waitcnt lgkmcnt(0)
	s_cmp_eq_u32 s3, 0
	s_cbranch_scc1 .LBB16_4
; %bb.1:
	v_mbcnt_lo_u32_b32 v4, -1, 0
	v_mbcnt_hi_u32_b32 v9, -1, v4
	v_and_b32_e32 v4, 3, v9
	v_add_u32_e32 v5, -1, v9
	v_xor_b32_e32 v10, 2, v4
	v_and_b32_e32 v8, 3, v5
	v_add_u32_e32 v5, -1, v10
	v_and_b32_e32 v12, 3, v5
	v_and_b32_e32 v7, 0x70, v9
	v_add_u32_e32 v5, 12, v9
	v_add_u32_e32 v11, 4, v9
	v_and_or_b32 v5, v5, 15, v7
	v_and_or_b32 v7, v11, 15, v7
	v_lshrrev_b32_e32 v11, 2, v9
	v_bfe_u32 v14, v9, 2, 2
	v_lshlrev_b32_e32 v6, 2, v9
	v_add_u32_e32 v9, -1, v11
	v_xor_b32_e32 v18, 2, v14
	v_and_b32_e32 v16, 3, v9
	v_add_u32_e32 v9, -1, v18
	v_and_b32_e32 v20, 3, v9
	v_lshlrev_b32_e32 v5, 2, v5
	v_xor_b32_e32 v6, 32, v6
	v_lshlrev_b32_e32 v7, 2, v7
	v_cmp_eq_u32_e32 vcc, 1, v8
	v_cmp_eq_u32_e64 s[50:51], 2, v8
	v_cmp_eq_u32_e64 s[4:5], 3, v8
	;; [unrolled: 1-line block ×23, first 2 shown]
	v_mov_b32_e32 v4, v0
.LBB16_2:                               ; =>This Inner Loop Header: Depth=1
	s_waitcnt lgkmcnt(2)
	v_mov_b32_dpp v1, v1 quad_perm:[3,0,1,2] row_mask:0xf bank_mask:0xf
	s_waitcnt lgkmcnt(1)
	v_mov_b32_dpp v2, v2 quad_perm:[2,3,0,1] row_mask:0xf bank_mask:0xf
	v_cndmask_b32_e32 v8, v4, v1, vcc
	s_waitcnt lgkmcnt(0)
	v_mov_b32_dpp v3, v3 quad_perm:[1,2,3,0] row_mask:0xf bank_mask:0xf
	v_cndmask_b32_e64 v8, v8, v2, s[50:51]
	v_cndmask_b32_e64 v9, v4, v1, s[6:7]
	;; [unrolled: 1-line block ×7, first 2 shown]
	v_mov_b32_dpp v8, v8 quad_perm:[1,2,3,0] row_mask:0xf bank_mask:0xf
	v_cndmask_b32_e64 v10, v10, v3, s[16:17]
	v_mov_b32_dpp v9, v9 quad_perm:[2,3,0,1] row_mask:0xf bank_mask:0xf
	ds_bpermute_b32 v8, v5, v8
	v_mov_b32_dpp v10, v10 quad_perm:[3,0,1,2] row_mask:0xf bank_mask:0xf
	ds_bpermute_b32 v9, v6, v9
	v_cndmask_b32_e64 v1, v4, v1, s[18:19]
	ds_bpermute_b32 v10, v7, v10
	v_cndmask_b32_e64 v1, v1, v2, s[20:21]
	v_cndmask_b32_e64 v1, v1, v3, s[22:23]
	s_waitcnt lgkmcnt(2)
	v_cndmask_b32_e64 v2, v1, v8, s[24:25]
	s_waitcnt lgkmcnt(1)
	v_cndmask_b32_e64 v2, v2, v9, s[26:27]
	s_waitcnt lgkmcnt(0)
	v_cndmask_b32_e64 v4, v2, v10, s[28:29]
	v_cndmask_b32_e64 v2, v1, v8, s[30:31]
	;; [unrolled: 1-line block ×10, first 2 shown]
	ds_bpermute_b32 v1, v7, v2
	ds_bpermute_b32 v2, v6, v3
	ds_bpermute_b32 v3, v5, v8
	s_add_i32 s3, s3, -1
	s_cmp_lg_u32 s3, 0
	; wave barrier
	s_cbranch_scc1 .LBB16_2
; %bb.3:
	s_waitcnt lgkmcnt(2)
	v_mov_b32_e32 v5, v1
	s_waitcnt lgkmcnt(1)
	v_mov_b32_e32 v6, v2
	;; [unrolled: 2-line block ×3, first 2 shown]
	s_branch .LBB16_5
.LBB16_4:
	v_mov_b64_e32 v[6:7], v[2:3]
	v_mov_b64_e32 v[4:5], v[0:1]
.LBB16_5:
	s_load_dwordx2 s[0:1], s[0:1], 0x0
	v_lshl_or_b32 v0, s2, 10, v0
	v_mov_b32_e32 v1, 0
	s_waitcnt lgkmcnt(0)
	v_lshl_add_u64 v[0:1], v[0:1], 2, s[0:1]
	global_store_dwordx4 v[0:1], v[4:7], off
	s_endpgm
	.section	.rodata,"a",@progbits
	.p2align	6, 0x0
	.amdhsa_kernel _Z20warp_exchange_kernelILj256ELj4ELj16EN6common25BlockedToStripedShuffleOpEiEvPT3_j
		.amdhsa_group_segment_fixed_size 0
		.amdhsa_private_segment_fixed_size 0
		.amdhsa_kernarg_size 12
		.amdhsa_user_sgpr_count 2
		.amdhsa_user_sgpr_dispatch_ptr 0
		.amdhsa_user_sgpr_queue_ptr 0
		.amdhsa_user_sgpr_kernarg_segment_ptr 1
		.amdhsa_user_sgpr_dispatch_id 0
		.amdhsa_user_sgpr_kernarg_preload_length 0
		.amdhsa_user_sgpr_kernarg_preload_offset 0
		.amdhsa_user_sgpr_private_segment_size 0
		.amdhsa_uses_dynamic_stack 0
		.amdhsa_enable_private_segment 0
		.amdhsa_system_sgpr_workgroup_id_x 1
		.amdhsa_system_sgpr_workgroup_id_y 0
		.amdhsa_system_sgpr_workgroup_id_z 0
		.amdhsa_system_sgpr_workgroup_info 0
		.amdhsa_system_vgpr_workitem_id 0
		.amdhsa_next_free_vgpr 21
		.amdhsa_next_free_sgpr 52
		.amdhsa_accum_offset 24
		.amdhsa_reserve_vcc 1
		.amdhsa_float_round_mode_32 0
		.amdhsa_float_round_mode_16_64 0
		.amdhsa_float_denorm_mode_32 3
		.amdhsa_float_denorm_mode_16_64 3
		.amdhsa_dx10_clamp 1
		.amdhsa_ieee_mode 1
		.amdhsa_fp16_overflow 0
		.amdhsa_tg_split 0
		.amdhsa_exception_fp_ieee_invalid_op 0
		.amdhsa_exception_fp_denorm_src 0
		.amdhsa_exception_fp_ieee_div_zero 0
		.amdhsa_exception_fp_ieee_overflow 0
		.amdhsa_exception_fp_ieee_underflow 0
		.amdhsa_exception_fp_ieee_inexact 0
		.amdhsa_exception_int_div_zero 0
	.end_amdhsa_kernel
	.section	.text._Z20warp_exchange_kernelILj256ELj4ELj16EN6common25BlockedToStripedShuffleOpEiEvPT3_j,"axG",@progbits,_Z20warp_exchange_kernelILj256ELj4ELj16EN6common25BlockedToStripedShuffleOpEiEvPT3_j,comdat
.Lfunc_end16:
	.size	_Z20warp_exchange_kernelILj256ELj4ELj16EN6common25BlockedToStripedShuffleOpEiEvPT3_j, .Lfunc_end16-_Z20warp_exchange_kernelILj256ELj4ELj16EN6common25BlockedToStripedShuffleOpEiEvPT3_j
                                        ; -- End function
	.section	.AMDGPU.csdata,"",@progbits
; Kernel info:
; codeLenInByte = 748
; NumSgprs: 58
; NumVgprs: 21
; NumAgprs: 0
; TotalNumVgprs: 21
; ScratchSize: 0
; MemoryBound: 0
; FloatMode: 240
; IeeeMode: 1
; LDSByteSize: 0 bytes/workgroup (compile time only)
; SGPRBlocks: 7
; VGPRBlocks: 2
; NumSGPRsForWavesPerEU: 58
; NumVGPRsForWavesPerEU: 21
; AccumOffset: 24
; Occupancy: 8
; WaveLimiterHint : 0
; COMPUTE_PGM_RSRC2:SCRATCH_EN: 0
; COMPUTE_PGM_RSRC2:USER_SGPR: 2
; COMPUTE_PGM_RSRC2:TRAP_HANDLER: 0
; COMPUTE_PGM_RSRC2:TGID_X_EN: 1
; COMPUTE_PGM_RSRC2:TGID_Y_EN: 0
; COMPUTE_PGM_RSRC2:TGID_Z_EN: 0
; COMPUTE_PGM_RSRC2:TIDIG_COMP_CNT: 0
; COMPUTE_PGM_RSRC3_GFX90A:ACCUM_OFFSET: 5
; COMPUTE_PGM_RSRC3_GFX90A:TG_SPLIT: 0
	.section	.text._Z20warp_exchange_kernelILj256ELj4ELj32EN6common25BlockedToStripedShuffleOpEiEvPT3_j,"axG",@progbits,_Z20warp_exchange_kernelILj256ELj4ELj32EN6common25BlockedToStripedShuffleOpEiEvPT3_j,comdat
	.protected	_Z20warp_exchange_kernelILj256ELj4ELj32EN6common25BlockedToStripedShuffleOpEiEvPT3_j ; -- Begin function _Z20warp_exchange_kernelILj256ELj4ELj32EN6common25BlockedToStripedShuffleOpEiEvPT3_j
	.globl	_Z20warp_exchange_kernelILj256ELj4ELj32EN6common25BlockedToStripedShuffleOpEiEvPT3_j
	.p2align	8
	.type	_Z20warp_exchange_kernelILj256ELj4ELj32EN6common25BlockedToStripedShuffleOpEiEvPT3_j,@function
_Z20warp_exchange_kernelILj256ELj4ELj32EN6common25BlockedToStripedShuffleOpEiEvPT3_j: ; @_Z20warp_exchange_kernelILj256ELj4ELj32EN6common25BlockedToStripedShuffleOpEiEvPT3_j
; %bb.0:
	s_load_dword s3, s[0:1], 0x8
	v_lshlrev_b32_e32 v0, 2, v0
	v_or_b32_e32 v1, 1, v0
	v_or_b32_e32 v2, 2, v0
	;; [unrolled: 1-line block ×3, first 2 shown]
	s_waitcnt lgkmcnt(0)
	s_cmp_eq_u32 s3, 0
	s_cbranch_scc1 .LBB17_4
; %bb.1:
	v_mbcnt_lo_u32_b32 v4, -1, 0
	v_mbcnt_hi_u32_b32 v4, -1, v4
	v_and_b32_e32 v5, 3, v4
	v_cmp_eq_u32_e32 vcc, 3, v5
	v_cmp_eq_u32_e64 s[6:7], 2, v5
	v_cmp_eq_u32_e64 s[4:5], 1, v5
	v_lshlrev_b32_e32 v5, 2, v4
	v_and_b32_e32 v4, 28, v4
	s_movk_i32 s8, 0x180
	v_and_or_b32 v5, v5, s8, v4
	v_or_b32_e32 v6, 32, v5
	v_or_b32_e32 v7, 64, v5
	;; [unrolled: 1-line block ×3, first 2 shown]
	v_mov_b32_e32 v4, v0
.LBB17_2:                               ; =>This Inner Loop Header: Depth=1
	v_mov_b32_e32 v9, v1
	v_mov_b32_e32 v10, v4
	ds_bpermute_b32 v1, v5, v4
	ds_bpermute_b32 v4, v5, v9
	;; [unrolled: 1-line block ×6, first 2 shown]
	s_waitcnt lgkmcnt(4)
	v_cndmask_b32_e64 v1, v1, v4, s[4:5]
	s_waitcnt lgkmcnt(3)
	v_cndmask_b32_e64 v1, v1, v11, s[6:7]
	ds_bpermute_b32 v4, v5, v3
	ds_bpermute_b32 v11, v6, v10
	;; [unrolled: 1-line block ×5, first 2 shown]
	s_waitcnt lgkmcnt(4)
	v_cndmask_b32_e32 v4, v1, v4, vcc
	s_waitcnt lgkmcnt(3)
	v_cndmask_b32_e64 v1, v11, v12, s[4:5]
	v_cndmask_b32_e64 v1, v1, v13, s[6:7]
	ds_bpermute_b32 v9, v8, v9
	v_cndmask_b32_e32 v1, v1, v14, vcc
	ds_bpermute_b32 v12, v7, v2
	ds_bpermute_b32 v14, v8, v2
	;; [unrolled: 1-line block ×4, first 2 shown]
	s_waitcnt lgkmcnt(6)
	v_cndmask_b32_e64 v11, v15, v16, s[4:5]
	s_waitcnt lgkmcnt(4)
	v_cndmask_b32_e64 v9, v10, v9, s[4:5]
	;; [unrolled: 2-line block ×4, first 2 shown]
	s_add_i32 s3, s3, -1
	s_waitcnt lgkmcnt(1)
	v_cndmask_b32_e32 v2, v2, v13, vcc
	s_waitcnt lgkmcnt(0)
	v_cndmask_b32_e32 v3, v9, v3, vcc
	s_cmp_lg_u32 s3, 0
	; wave barrier
	s_cbranch_scc1 .LBB17_2
; %bb.3:
	v_mov_b32_e32 v5, v1
	v_mov_b32_e32 v6, v2
	;; [unrolled: 1-line block ×3, first 2 shown]
	s_branch .LBB17_5
.LBB17_4:
	v_mov_b64_e32 v[6:7], v[2:3]
	v_mov_b64_e32 v[4:5], v[0:1]
.LBB17_5:
	s_load_dwordx2 s[0:1], s[0:1], 0x0
	v_lshl_or_b32 v0, s2, 10, v0
	v_mov_b32_e32 v1, 0
	s_waitcnt lgkmcnt(0)
	v_lshl_add_u64 v[0:1], v[0:1], 2, s[0:1]
	global_store_dwordx4 v[0:1], v[4:7], off
	s_endpgm
	.section	.rodata,"a",@progbits
	.p2align	6, 0x0
	.amdhsa_kernel _Z20warp_exchange_kernelILj256ELj4ELj32EN6common25BlockedToStripedShuffleOpEiEvPT3_j
		.amdhsa_group_segment_fixed_size 0
		.amdhsa_private_segment_fixed_size 0
		.amdhsa_kernarg_size 12
		.amdhsa_user_sgpr_count 2
		.amdhsa_user_sgpr_dispatch_ptr 0
		.amdhsa_user_sgpr_queue_ptr 0
		.amdhsa_user_sgpr_kernarg_segment_ptr 1
		.amdhsa_user_sgpr_dispatch_id 0
		.amdhsa_user_sgpr_kernarg_preload_length 0
		.amdhsa_user_sgpr_kernarg_preload_offset 0
		.amdhsa_user_sgpr_private_segment_size 0
		.amdhsa_uses_dynamic_stack 0
		.amdhsa_enable_private_segment 0
		.amdhsa_system_sgpr_workgroup_id_x 1
		.amdhsa_system_sgpr_workgroup_id_y 0
		.amdhsa_system_sgpr_workgroup_id_z 0
		.amdhsa_system_sgpr_workgroup_info 0
		.amdhsa_system_vgpr_workitem_id 0
		.amdhsa_next_free_vgpr 17
		.amdhsa_next_free_sgpr 9
		.amdhsa_accum_offset 20
		.amdhsa_reserve_vcc 1
		.amdhsa_float_round_mode_32 0
		.amdhsa_float_round_mode_16_64 0
		.amdhsa_float_denorm_mode_32 3
		.amdhsa_float_denorm_mode_16_64 3
		.amdhsa_dx10_clamp 1
		.amdhsa_ieee_mode 1
		.amdhsa_fp16_overflow 0
		.amdhsa_tg_split 0
		.amdhsa_exception_fp_ieee_invalid_op 0
		.amdhsa_exception_fp_denorm_src 0
		.amdhsa_exception_fp_ieee_div_zero 0
		.amdhsa_exception_fp_ieee_overflow 0
		.amdhsa_exception_fp_ieee_underflow 0
		.amdhsa_exception_fp_ieee_inexact 0
		.amdhsa_exception_int_div_zero 0
	.end_amdhsa_kernel
	.section	.text._Z20warp_exchange_kernelILj256ELj4ELj32EN6common25BlockedToStripedShuffleOpEiEvPT3_j,"axG",@progbits,_Z20warp_exchange_kernelILj256ELj4ELj32EN6common25BlockedToStripedShuffleOpEiEvPT3_j,comdat
.Lfunc_end17:
	.size	_Z20warp_exchange_kernelILj256ELj4ELj32EN6common25BlockedToStripedShuffleOpEiEvPT3_j, .Lfunc_end17-_Z20warp_exchange_kernelILj256ELj4ELj32EN6common25BlockedToStripedShuffleOpEiEvPT3_j
                                        ; -- End function
	.section	.AMDGPU.csdata,"",@progbits
; Kernel info:
; codeLenInByte = 452
; NumSgprs: 15
; NumVgprs: 17
; NumAgprs: 0
; TotalNumVgprs: 17
; ScratchSize: 0
; MemoryBound: 0
; FloatMode: 240
; IeeeMode: 1
; LDSByteSize: 0 bytes/workgroup (compile time only)
; SGPRBlocks: 1
; VGPRBlocks: 2
; NumSGPRsForWavesPerEU: 15
; NumVGPRsForWavesPerEU: 17
; AccumOffset: 20
; Occupancy: 8
; WaveLimiterHint : 0
; COMPUTE_PGM_RSRC2:SCRATCH_EN: 0
; COMPUTE_PGM_RSRC2:USER_SGPR: 2
; COMPUTE_PGM_RSRC2:TRAP_HANDLER: 0
; COMPUTE_PGM_RSRC2:TGID_X_EN: 1
; COMPUTE_PGM_RSRC2:TGID_Y_EN: 0
; COMPUTE_PGM_RSRC2:TGID_Z_EN: 0
; COMPUTE_PGM_RSRC2:TIDIG_COMP_CNT: 0
; COMPUTE_PGM_RSRC3_GFX90A:ACCUM_OFFSET: 4
; COMPUTE_PGM_RSRC3_GFX90A:TG_SPLIT: 0
	.section	.text._Z20warp_exchange_kernelILj256ELj16ELj16EN6common25BlockedToStripedShuffleOpEiEvPT3_j,"axG",@progbits,_Z20warp_exchange_kernelILj256ELj16ELj16EN6common25BlockedToStripedShuffleOpEiEvPT3_j,comdat
	.protected	_Z20warp_exchange_kernelILj256ELj16ELj16EN6common25BlockedToStripedShuffleOpEiEvPT3_j ; -- Begin function _Z20warp_exchange_kernelILj256ELj16ELj16EN6common25BlockedToStripedShuffleOpEiEvPT3_j
	.globl	_Z20warp_exchange_kernelILj256ELj16ELj16EN6common25BlockedToStripedShuffleOpEiEvPT3_j
	.p2align	8
	.type	_Z20warp_exchange_kernelILj256ELj16ELj16EN6common25BlockedToStripedShuffleOpEiEvPT3_j,@function
_Z20warp_exchange_kernelILj256ELj16ELj16EN6common25BlockedToStripedShuffleOpEiEvPT3_j: ; @_Z20warp_exchange_kernelILj256ELj16ELj16EN6common25BlockedToStripedShuffleOpEiEvPT3_j
; %bb.0:
	s_load_dword s3, s[0:1], 0x8
	v_lshlrev_b32_e32 v16, 4, v0
	v_or_b32_e32 v1, 1, v16
	v_or_b32_e32 v3, 3, v16
	;; [unrolled: 1-line block ×14, first 2 shown]
	s_waitcnt lgkmcnt(0)
	s_cmp_eq_u32 s3, 0
	v_or_b32_e32 v10, 14, v16
	s_cbranch_scc1 .LBB18_3
; %bb.1:
	v_mbcnt_lo_u32_b32 v0, -1, 0
	v_mbcnt_hi_u32_b32 v0, -1, v0
	v_and_b32_e32 v18, 8, v0
	v_cmp_eq_u32_e32 vcc, 0, v18
	v_and_b32_e32 v26, 4, v0
	v_lshlrev_b32_e32 v17, 2, v18
	v_mov_b32_e32 v25, 0
	v_cndmask_b32_e64 v18, 4, 36, vcc
	v_cndmask_b32_e64 v19, 8, 40, vcc
	;; [unrolled: 1-line block ×7, first 2 shown]
	v_lshlrev_b32_e32 v27, 2, v26
	v_cmp_eq_u32_e32 vcc, 0, v26
	v_and_b32_e32 v34, 2, v0
	v_xad_u32 v17, v17, 32, v25
	v_xad_u32 v25, v27, 16, v25
	v_cndmask_b32_e64 v26, 4, 20, vcc
	v_cndmask_b32_e64 v27, 8, 24, vcc
	;; [unrolled: 1-line block ×7, first 2 shown]
	v_cmp_eq_u32_e32 vcc, 0, v34
	v_and_b32_e32 v0, 1, v0
	v_lshlrev_b32_e32 v33, 2, v34
	v_cndmask_b32_e64 v47, 4, 12, vcc
	v_cndmask_b32_e64 v34, 16, 24, vcc
	;; [unrolled: 1-line block ×7, first 2 shown]
	v_lshlrev_b32_e32 v40, 2, v0
	v_cmp_eq_u32_e32 vcc, 0, v0
	v_xor_b32_e32 v33, 8, v33
	v_xor_b32_e32 v40, 4, v40
	v_cndmask_b32_e64 v0, 8, 12, vcc
	v_or_b32_e32 v33, 0, v33
	v_or_b32_e32 v40, 0, v40
	v_cndmask_b32_e64 v41, 16, 20, vcc
	v_cndmask_b32_e64 v42, 24, 28, vcc
	;; [unrolled: 1-line block ×6, first 2 shown]
	v_or_b32_e32 v47, 0, v47
	v_or_b32_e32 v48, 0, v0
	v_mov_b32_e32 v0, v16
.LBB18_2:                               ; =>This Inner Loop Header: Depth=1
	scratch_store_dwordx4 off, v[0:3], off
	scratch_store_dwordx4 off, v[4:7], off offset:16
	s_waitcnt vmcnt(5)
	scratch_store_dwordx4 off, v[12:15], off offset:32
	scratch_load_dword v0, v17, off
	s_add_i32 s3, s3, -1
	s_waitcnt vmcnt(4)
	scratch_store_dwordx4 off, v[8:11], off offset:48
	s_cmp_lg_u32 s3, 0
	s_waitcnt vmcnt(1)
	ds_swizzle_b32 v0, v0 offset:swizzle(SWAP,8)
	s_waitcnt lgkmcnt(0)
	scratch_store_dword v17, v0, off
	scratch_load_dword v0, v18, off
	s_waitcnt vmcnt(0)
	ds_swizzle_b32 v0, v0 offset:swizzle(SWAP,8)
	s_waitcnt lgkmcnt(0)
	scratch_store_dword v18, v0, off
	scratch_load_dword v0, v19, off
	;; [unrolled: 5-line block ×5, first 2 shown]
	s_nop 0
	scratch_load_dword v1, v25, off
	s_waitcnt vmcnt(1)
	ds_swizzle_b32 v0, v0 offset:swizzle(SWAP,8)
	s_waitcnt vmcnt(0)
	ds_swizzle_b32 v1, v1 offset:swizzle(SWAP,4)
	s_waitcnt lgkmcnt(1)
	scratch_store_dword v22, v0, off
	s_waitcnt lgkmcnt(0)
	scratch_store_dword v25, v1, off
	scratch_load_dword v0, v23, off
	s_nop 0
	scratch_load_dword v1, v26, off
	s_waitcnt vmcnt(1)
	ds_swizzle_b32 v0, v0 offset:swizzle(SWAP,8)
	s_waitcnt vmcnt(0)
	ds_swizzle_b32 v1, v1 offset:swizzle(SWAP,4)
	s_waitcnt lgkmcnt(1)
	scratch_store_dword v23, v0, off
	s_waitcnt lgkmcnt(0)
	scratch_store_dword v26, v1, off
	scratch_load_dword v0, v24, off
	;; [unrolled: 11-line block ×3, first 2 shown]
	s_nop 0
	scratch_load_dword v1, v33, off
	scratch_load_dword v2, v29, off
	s_waitcnt vmcnt(2)
	ds_swizzle_b32 v0, v0 offset:swizzle(SWAP,4)
	s_waitcnt vmcnt(1)
	ds_swizzle_b32 v1, v1 offset:swizzle(SWAP,2)
	;; [unrolled: 2-line block ×3, first 2 shown]
	s_waitcnt lgkmcnt(2)
	scratch_store_dword v28, v0, off
	s_waitcnt lgkmcnt(1)
	scratch_store_dword v33, v1, off
	scratch_load_dword v0, v47, off
	s_waitcnt lgkmcnt(0)
	scratch_store_dword v29, v2, off
	scratch_load_dword v2, v34, off
	s_waitcnt vmcnt(2)
	ds_swizzle_b32 v0, v0 offset:swizzle(SWAP,2)
	scratch_load_dword v1, v30, off
	s_waitcnt vmcnt(1)
	ds_swizzle_b32 v2, v2 offset:swizzle(SWAP,2)
	s_waitcnt lgkmcnt(1)
	scratch_store_dword v47, v0, off
	scratch_load_dword v0, v40, off
	s_waitcnt vmcnt(2)
	ds_swizzle_b32 v1, v1 offset:swizzle(SWAP,4)
	s_waitcnt lgkmcnt(1)
	scratch_store_dword v34, v2, off
	s_waitcnt lgkmcnt(0)
	scratch_store_dword v30, v1, off
	scratch_load_dword v1, v31, off
	s_nop 0
	scratch_load_dword v2, v35, off
	scratch_load_dword v3, v48, off
	s_waitcnt vmcnt(5)
	ds_swizzle_b32 v0, v0 offset:swizzle(SWAP,1)
	s_waitcnt vmcnt(2)
	ds_swizzle_b32 v1, v1 offset:swizzle(SWAP,4)
	s_waitcnt lgkmcnt(0)
	scratch_store_dword v31, v1, off
	scratch_load_dword v4, v32, off
	scratch_load_dword v5, v36, off
	s_waitcnt vmcnt(3)
	ds_swizzle_b32 v1, v3 offset:swizzle(SWAP,1)
	scratch_store_dword v40, v0, off
	ds_swizzle_b32 v0, v2 offset:swizzle(SWAP,2)
	s_waitcnt lgkmcnt(0)
	scratch_store_dword v35, v0, off
	scratch_store_dword v48, v1, off
	scratch_load_dword v6, v41, off
	s_nop 0
	scratch_load_dwordx4 v[0:3], off, off
	s_waitcnt vmcnt(6)
	ds_swizzle_b32 v4, v4 offset:swizzle(SWAP,4)
	s_waitcnt vmcnt(5)
	ds_swizzle_b32 v5, v5 offset:swizzle(SWAP,2)
	s_waitcnt lgkmcnt(1)
	scratch_store_dword v32, v4, off
	s_waitcnt lgkmcnt(0)
	scratch_store_dword v36, v5, off
	scratch_load_dword v4, v38, off
	s_nop 0
	scratch_load_dword v5, v37, off
	scratch_load_dword v7, v42, off
	s_waitcnt vmcnt(2)
	ds_swizzle_b32 v4, v4 offset:swizzle(SWAP,2)
	s_waitcnt lgkmcnt(0)
	scratch_store_dword v38, v4, off
	scratch_load_dword v8, v39, off
	ds_swizzle_b32 v4, v6 offset:swizzle(SWAP,1)
	s_waitcnt lgkmcnt(0)
	scratch_store_dword v41, v4, off
	s_waitcnt vmcnt(4)
	ds_swizzle_b32 v4, v5 offset:swizzle(SWAP,2)
	s_waitcnt vmcnt(3)
	ds_swizzle_b32 v5, v7 offset:swizzle(SWAP,1)
	s_waitcnt lgkmcnt(1)
	scratch_store_dword v37, v4, off
	s_waitcnt lgkmcnt(0)
	scratch_store_dword v42, v5, off
	scratch_load_dword v9, v43, off
	scratch_load_dword v10, v44, off
	s_nop 0
	scratch_load_dwordx4 v[4:7], off, off offset:16
	s_waitcnt vmcnt(6)
	ds_swizzle_b32 v8, v8 offset:swizzle(SWAP,2)
	s_waitcnt lgkmcnt(0)
	scratch_store_dword v39, v8, off
	scratch_load_dword v8, v45, off
	s_nop 0
	scratch_load_dword v11, v46, off
	s_waitcnt vmcnt(5)
	ds_swizzle_b32 v9, v9 offset:swizzle(SWAP,1)
	s_waitcnt vmcnt(4)
	ds_swizzle_b32 v10, v10 offset:swizzle(SWAP,1)
	s_waitcnt lgkmcnt(1)
	scratch_store_dword v43, v9, off
	s_waitcnt lgkmcnt(0)
	scratch_store_dword v44, v10, off
	scratch_load_dwordx4 v[12:15], off, off offset:32
	s_waitcnt vmcnt(4)
	ds_swizzle_b32 v8, v8 offset:swizzle(SWAP,1)
	s_waitcnt vmcnt(3)
	ds_swizzle_b32 v9, v11 offset:swizzle(SWAP,1)
	s_waitcnt lgkmcnt(1)
	scratch_store_dword v45, v8, off
	s_waitcnt lgkmcnt(0)
	scratch_store_dword v46, v9, off
	scratch_load_dwordx4 v[8:11], off, off offset:48
	; wave barrier
	s_cbranch_scc1 .LBB18_2
	s_branch .LBB18_4
.LBB18_3:
	v_mov_b32_e32 v17, v1
	v_mov_b64_e32 v[0:1], v[16:17]
.LBB18_4:
	s_load_dwordx2 s[0:1], s[0:1], 0x0
	v_lshl_or_b32 v16, s2, 12, v16
	v_mov_b32_e32 v17, 0
	s_waitcnt lgkmcnt(0)
	v_lshl_add_u64 v[16:17], v[16:17], 2, s[0:1]
	global_store_dwordx4 v[16:17], v[0:3], off
	global_store_dwordx4 v[16:17], v[4:7], off offset:16
	s_waitcnt vmcnt(5)
	global_store_dwordx4 v[16:17], v[12:15], off offset:32
	s_waitcnt vmcnt(3)
	global_store_dwordx4 v[16:17], v[8:11], off offset:48
	s_endpgm
	.section	.rodata,"a",@progbits
	.p2align	6, 0x0
	.amdhsa_kernel _Z20warp_exchange_kernelILj256ELj16ELj16EN6common25BlockedToStripedShuffleOpEiEvPT3_j
		.amdhsa_group_segment_fixed_size 0
		.amdhsa_private_segment_fixed_size 80
		.amdhsa_kernarg_size 12
		.amdhsa_user_sgpr_count 2
		.amdhsa_user_sgpr_dispatch_ptr 0
		.amdhsa_user_sgpr_queue_ptr 0
		.amdhsa_user_sgpr_kernarg_segment_ptr 1
		.amdhsa_user_sgpr_dispatch_id 0
		.amdhsa_user_sgpr_kernarg_preload_length 0
		.amdhsa_user_sgpr_kernarg_preload_offset 0
		.amdhsa_user_sgpr_private_segment_size 0
		.amdhsa_uses_dynamic_stack 0
		.amdhsa_enable_private_segment 1
		.amdhsa_system_sgpr_workgroup_id_x 1
		.amdhsa_system_sgpr_workgroup_id_y 0
		.amdhsa_system_sgpr_workgroup_id_z 0
		.amdhsa_system_sgpr_workgroup_info 0
		.amdhsa_system_vgpr_workitem_id 0
		.amdhsa_next_free_vgpr 49
		.amdhsa_next_free_sgpr 4
		.amdhsa_accum_offset 52
		.amdhsa_reserve_vcc 1
		.amdhsa_float_round_mode_32 0
		.amdhsa_float_round_mode_16_64 0
		.amdhsa_float_denorm_mode_32 3
		.amdhsa_float_denorm_mode_16_64 3
		.amdhsa_dx10_clamp 1
		.amdhsa_ieee_mode 1
		.amdhsa_fp16_overflow 0
		.amdhsa_tg_split 0
		.amdhsa_exception_fp_ieee_invalid_op 0
		.amdhsa_exception_fp_denorm_src 0
		.amdhsa_exception_fp_ieee_div_zero 0
		.amdhsa_exception_fp_ieee_overflow 0
		.amdhsa_exception_fp_ieee_underflow 0
		.amdhsa_exception_fp_ieee_inexact 0
		.amdhsa_exception_int_div_zero 0
	.end_amdhsa_kernel
	.section	.text._Z20warp_exchange_kernelILj256ELj16ELj16EN6common25BlockedToStripedShuffleOpEiEvPT3_j,"axG",@progbits,_Z20warp_exchange_kernelILj256ELj16ELj16EN6common25BlockedToStripedShuffleOpEiEvPT3_j,comdat
.Lfunc_end18:
	.size	_Z20warp_exchange_kernelILj256ELj16ELj16EN6common25BlockedToStripedShuffleOpEiEvPT3_j, .Lfunc_end18-_Z20warp_exchange_kernelILj256ELj16ELj16EN6common25BlockedToStripedShuffleOpEiEvPT3_j
                                        ; -- End function
	.section	.AMDGPU.csdata,"",@progbits
; Kernel info:
; codeLenInByte = 1636
; NumSgprs: 10
; NumVgprs: 49
; NumAgprs: 0
; TotalNumVgprs: 49
; ScratchSize: 80
; MemoryBound: 0
; FloatMode: 240
; IeeeMode: 1
; LDSByteSize: 0 bytes/workgroup (compile time only)
; SGPRBlocks: 1
; VGPRBlocks: 6
; NumSGPRsForWavesPerEU: 10
; NumVGPRsForWavesPerEU: 49
; AccumOffset: 52
; Occupancy: 8
; WaveLimiterHint : 0
; COMPUTE_PGM_RSRC2:SCRATCH_EN: 1
; COMPUTE_PGM_RSRC2:USER_SGPR: 2
; COMPUTE_PGM_RSRC2:TRAP_HANDLER: 0
; COMPUTE_PGM_RSRC2:TGID_X_EN: 1
; COMPUTE_PGM_RSRC2:TGID_Y_EN: 0
; COMPUTE_PGM_RSRC2:TGID_Z_EN: 0
; COMPUTE_PGM_RSRC2:TIDIG_COMP_CNT: 0
; COMPUTE_PGM_RSRC3_GFX90A:ACCUM_OFFSET: 12
; COMPUTE_PGM_RSRC3_GFX90A:TG_SPLIT: 0
	.section	.text._Z20warp_exchange_kernelILj256ELj16ELj32EN6common25BlockedToStripedShuffleOpEiEvPT3_j,"axG",@progbits,_Z20warp_exchange_kernelILj256ELj16ELj32EN6common25BlockedToStripedShuffleOpEiEvPT3_j,comdat
	.protected	_Z20warp_exchange_kernelILj256ELj16ELj32EN6common25BlockedToStripedShuffleOpEiEvPT3_j ; -- Begin function _Z20warp_exchange_kernelILj256ELj16ELj32EN6common25BlockedToStripedShuffleOpEiEvPT3_j
	.globl	_Z20warp_exchange_kernelILj256ELj16ELj32EN6common25BlockedToStripedShuffleOpEiEvPT3_j
	.p2align	8
	.type	_Z20warp_exchange_kernelILj256ELj16ELj32EN6common25BlockedToStripedShuffleOpEiEvPT3_j,@function
_Z20warp_exchange_kernelILj256ELj16ELj32EN6common25BlockedToStripedShuffleOpEiEvPT3_j: ; @_Z20warp_exchange_kernelILj256ELj16ELj32EN6common25BlockedToStripedShuffleOpEiEvPT3_j
; %bb.0:
	s_load_dword s3, s[0:1], 0x8
	v_lshlrev_b32_e32 v16, 4, v0
	v_or_b32_e32 v17, 1, v16
	v_or_b32_e32 v18, 2, v16
	;; [unrolled: 1-line block ×14, first 2 shown]
	s_waitcnt lgkmcnt(0)
	s_cmp_lg_u32 s3, 0
	v_or_b32_e32 v31, 15, v16
	s_cbranch_scc0 .LBB19_6
; %bb.1:
	v_mbcnt_lo_u32_b32 v0, -1, 0
	v_mbcnt_hi_u32_b32 v0, -1, v0
	v_and_b32_e32 v1, 3, v0
	v_add_u32_e32 v3, -1, v0
	v_xor_b32_e32 v38, 2, v1
	v_and_b32_e32 v34, 3, v3
	v_add_u32_e32 v3, 3, v38
	v_and_b32_e32 v39, 3, v3
	v_or_b32_e32 v40, 4, v3
	v_or_b32_e32 v41, 12, v3
	v_and_b32_e32 v3, 0x60, v0
	v_add_u32_e32 v4, 28, v0
	v_and_or_b32 v4, v4, 31, v3
	v_lshlrev_b32_e32 v42, 2, v4
	v_add_u32_e32 v4, 24, v0
	v_and_or_b32 v4, v4, 31, v3
	v_lshlrev_b32_e32 v43, 2, v4
	;; [unrolled: 3-line block ×3, first 2 shown]
	v_lshlrev_b32_e32 v4, 2, v0
	v_xor_b32_e32 v45, 64, v4
	v_add_u32_e32 v4, 12, v0
	v_and_or_b32 v4, v4, 31, v3
	v_lshlrev_b32_e32 v46, 2, v4
	v_add_u32_e32 v4, 8, v0
	v_and_or_b32 v4, v4, 31, v3
	v_lshlrev_b32_e32 v47, 2, v4
	;; [unrolled: 3-line block ×3, first 2 shown]
	v_lshrrev_b32_e32 v3, 2, v0
	v_bfe_u32 v49, v0, 2, 3
	v_add_u32_e32 v0, -1, v3
	v_and_b32_e32 v50, 7, v0
	v_add_u32_e32 v0, 6, v3
	v_and_b32_e32 v51, 7, v0
	v_add_u32_e32 v0, 5, v3
	v_xor_b32_e32 v53, 4, v49
	v_and_b32_e32 v52, 7, v0
	v_add_u32_e32 v0, 7, v53
	v_and_b32_e32 v54, 7, v0
	v_or_b32_e32 v55, 8, v0
	v_add_u32_e32 v0, 6, v53
	v_or_b32_e32 v2, 4, v1
	v_or_b32_e32 v32, 8, v1
	v_and_b32_e32 v56, 7, v0
	v_or_b32_e32 v57, 8, v0
	v_add_u32_e32 v0, 5, v53
	v_or_b32_e32 v33, 12, v1
	v_or_b32_e32 v35, 4, v34
	;; [unrolled: 1-line block ×4, first 2 shown]
	v_and_b32_e32 v58, 7, v0
	v_or_b32_e32 v59, 8, v0
	v_cmp_eq_u32_e32 vcc, 1, v1
	v_cmp_eq_u32_e64 s[76:77], 2, v1
	v_cmp_eq_u32_e64 s[4:5], 3, v1
	;; [unrolled: 1-line block ×36, first 2 shown]
	v_mov_b32_e32 v7, v31
	v_mov_b32_e32 v6, v30
	;; [unrolled: 1-line block ×16, first 2 shown]
	v_or_b32_e32 v60, 4, v38
	v_or_b32_e32 v61, 8, v38
	;; [unrolled: 1-line block ×9, first 2 shown]
.LBB19_2:                               ; =>This Inner Loop Header: Depth=1
	v_mov_b32_dpp v1, v1 quad_perm:[3,0,1,2] row_mask:0xf bank_mask:0xf
	v_cmp_eq_u32_e64 s[78:79], 1, v33
	v_cndmask_b32_e32 v69, v0, v1, vcc
	v_cndmask_b32_e64 v70, v0, v1, s[30:31]
	v_cndmask_b32_e64 v72, v0, v1, s[78:79]
	v_cmp_eq_u32_e64 s[78:79], 1, v34
	v_cndmask_b32_e64 v71, v0, v1, s[62:63]
	s_waitcnt lgkmcnt(7)
	v_mov_b32_dpp v9, v9 quad_perm:[3,0,1,2] row_mask:0xf bank_mask:0xf
	v_cndmask_b32_e64 v73, v0, v1, s[78:79]
	v_cmp_eq_u32_e64 s[78:79], 1, v35
	v_mov_b32_dpp v10, v10 quad_perm:[2,3,0,1] row_mask:0xf bank_mask:0xf
	v_mov_b32_dpp v11, v11 quad_perm:[1,2,3,0] row_mask:0xf bank_mask:0xf
	v_cndmask_b32_e64 v74, v0, v1, s[78:79]
	v_cmp_eq_u32_e64 s[78:79], 1, v36
	s_waitcnt lgkmcnt(4)
	v_mov_b32_dpp v5, v5 quad_perm:[3,0,1,2] row_mask:0xf bank_mask:0xf
	s_add_i32 s3, s3, -1
	v_cndmask_b32_e64 v75, v0, v1, s[78:79]
	v_cmp_eq_u32_e64 s[78:79], 1, v37
	s_cmp_lg_u32 s3, 0
	s_nop 0
	v_cndmask_b32_e64 v76, v0, v1, s[78:79]
	v_cmp_eq_u32_e64 s[78:79], 1, v38
	; wave barrier
	s_nop 1
	v_cndmask_b32_e64 v77, v0, v1, s[78:79]
	v_cmp_eq_u32_e64 s[78:79], 1, v60
	s_nop 1
	v_cndmask_b32_e64 v78, v0, v1, s[78:79]
	v_cmp_eq_u32_e64 s[78:79], 1, v61
	;; [unrolled: 3-line block ×7, first 2 shown]
	s_nop 1
	v_cndmask_b32_e64 v0, v0, v1, s[78:79]
	s_waitcnt lgkmcnt(2)
	v_mov_b32_dpp v1, v2 quad_perm:[2,3,0,1] row_mask:0xf bank_mask:0xf
	v_cmp_eq_u32_e64 s[78:79], 2, v33
	s_waitcnt lgkmcnt(1)
	v_mov_b32_dpp v2, v3 quad_perm:[1,2,3,0] row_mask:0xf bank_mask:0xf
	v_mov_b32_dpp v3, v13 quad_perm:[3,0,1,2] row_mask:0xf bank_mask:0xf
	v_cndmask_b32_e64 v13, v69, v1, s[76:77]
	v_cndmask_b32_e64 v69, v70, v1, s[34:35]
	v_cndmask_b32_e64 v70, v71, v1, s[64:65]
	v_cndmask_b32_e64 v71, v72, v1, s[78:79]
	v_cmp_eq_u32_e64 s[78:79], 2, v34
	v_cndmask_b32_e64 v13, v13, v2, s[4:5]
	v_cndmask_b32_e64 v13, v13, v12, s[6:7]
	;; [unrolled: 1-line block ×3, first 2 shown]
	v_cmp_eq_u32_e64 s[78:79], 2, v35
	s_nop 1
	v_cndmask_b32_e64 v73, v74, v1, s[78:79]
	v_cmp_eq_u32_e64 s[78:79], 2, v36
	s_nop 1
	v_cndmask_b32_e64 v74, v75, v1, s[78:79]
	;; [unrolled: 3-line block ×11, first 2 shown]
	v_cmp_eq_u32_e64 s[78:79], 3, v33
	v_mov_b32_dpp v1, v14 quad_perm:[2,3,0,1] row_mask:0xf bank_mask:0xf
	v_cndmask_b32_e64 v14, v69, v2, s[36:37]
	v_cndmask_b32_e64 v69, v70, v2, s[66:67]
	;; [unrolled: 1-line block ×3, first 2 shown]
	v_cmp_eq_u32_e64 s[78:79], 3, v34
	v_cndmask_b32_e64 v14, v14, v12, s[38:39]
	s_nop 0
	v_cndmask_b32_e64 v71, v72, v2, s[78:79]
	v_cmp_eq_u32_e64 s[78:79], 3, v35
	s_nop 1
	v_cndmask_b32_e64 v72, v73, v2, s[78:79]
	v_cmp_eq_u32_e64 s[78:79], 3, v36
	;; [unrolled: 3-line block ×12, first 2 shown]
	v_mov_b32_dpp v2, v15 quad_perm:[1,2,3,0] row_mask:0xf bank_mask:0xf
	v_cndmask_b32_e64 v15, v69, v12, s[68:69]
	v_cndmask_b32_e64 v69, v70, v12, s[78:79]
	v_cmp_eq_u32_e64 s[78:79], 4, v34
	s_nop 1
	v_cndmask_b32_e64 v70, v71, v12, s[78:79]
	v_cmp_eq_u32_e64 s[78:79], 4, v35
	s_nop 1
	;; [unrolled: 3-line block ×12, first 2 shown]
	v_cndmask_b32_e64 v0, v0, v12, s[78:79]
	v_cmp_eq_u32_e64 s[78:79], 5, v33
	v_cndmask_b32_e64 v12, v13, v3, s[8:9]
	v_cndmask_b32_e64 v13, v14, v3, s[40:41]
	;; [unrolled: 1-line block ×4, first 2 shown]
	v_cmp_eq_u32_e64 s[78:79], 5, v34
	s_nop 1
	v_cndmask_b32_e64 v69, v70, v3, s[78:79]
	v_cmp_eq_u32_e64 s[78:79], 5, v35
	s_nop 1
	v_cndmask_b32_e64 v70, v71, v3, s[78:79]
	v_cmp_eq_u32_e64 s[78:79], 5, v36
	s_nop 1
	v_cndmask_b32_e64 v71, v72, v3, s[78:79]
	v_cmp_eq_u32_e64 s[78:79], 5, v37
	s_nop 1
	v_cndmask_b32_e64 v72, v73, v3, s[78:79]
	v_cmp_eq_u32_e64 s[78:79], 5, v38
	s_nop 1
	v_cndmask_b32_e64 v73, v74, v3, s[78:79]
	v_cmp_eq_u32_e64 s[78:79], 5, v60
	s_nop 1
	v_cndmask_b32_e64 v74, v75, v3, s[78:79]
	v_cmp_eq_u32_e64 s[78:79], 5, v61
	s_nop 1
	v_cndmask_b32_e64 v75, v76, v3, s[78:79]
	v_cmp_eq_u32_e64 s[78:79], 5, v62
	s_nop 1
	v_cndmask_b32_e64 v76, v77, v3, s[78:79]
	v_cmp_eq_u32_e64 s[78:79], 5, v39
	s_nop 1
	v_cndmask_b32_e64 v77, v78, v3, s[78:79]
	v_cmp_eq_u32_e64 s[78:79], 5, v40
	s_nop 1
	v_cndmask_b32_e64 v78, v79, v3, s[78:79]
	v_cmp_eq_u32_e64 s[78:79], 5, v63
	s_nop 1
	v_cndmask_b32_e64 v79, v80, v3, s[78:79]
	v_cmp_eq_u32_e64 s[78:79], 5, v41
	s_nop 1
	v_cndmask_b32_e64 v0, v0, v3, s[78:79]
	v_cmp_eq_u32_e64 s[78:79], 6, v33
	v_mov_b32_dpp v3, v6 quad_perm:[2,3,0,1] row_mask:0xf bank_mask:0xf
	v_cndmask_b32_e64 v6, v12, v1, s[10:11]
	v_cndmask_b32_e64 v12, v13, v1, s[42:43]
	;; [unrolled: 1-line block ×4, first 2 shown]
	v_cmp_eq_u32_e64 s[78:79], 6, v34
	v_cndmask_b32_e64 v6, v6, v2, s[12:13]
	v_cndmask_b32_e64 v6, v6, v8, s[14:15]
	v_cndmask_b32_e64 v69, v69, v1, s[78:79]
	v_cmp_eq_u32_e64 s[78:79], 6, v35
	v_cndmask_b32_e64 v6, v6, v9, s[16:17]
	v_cndmask_b32_e64 v6, v6, v10, s[18:19]
	v_cndmask_b32_e64 v70, v70, v1, s[78:79]
	;; [unrolled: 4-line block ×4, first 2 shown]
	v_cmp_eq_u32_e64 s[78:79], 6, v38
	s_nop 1
	v_cndmask_b32_e64 v73, v73, v1, s[78:79]
	v_cmp_eq_u32_e64 s[78:79], 6, v60
	s_nop 1
	v_cndmask_b32_e64 v74, v74, v1, s[78:79]
	;; [unrolled: 3-line block ×8, first 2 shown]
	s_waitcnt lgkmcnt(0)
	v_mov_b32_dpp v1, v7 quad_perm:[1,2,3,0] row_mask:0xf bank_mask:0xf
	v_cndmask_b32_e64 v7, v13, v2, s[74:75]
	v_cmp_eq_u32_e64 s[78:79], 8, v32
	v_cndmask_b32_e64 v15, v6, v1, s[28:29]
	v_cndmask_b32_e64 v6, v12, v2, s[44:45]
	v_cndmask_b32_e64 v7, v7, v8, s[78:79]
	v_cmp_eq_u32_e64 s[78:79], 9, v32
	v_cndmask_b32_e64 v6, v6, v8, s[46:47]
	v_cndmask_b32_e64 v6, v6, v9, s[48:49]
	;; [unrolled: 4-line block ×5, first 2 shown]
	v_cndmask_b32_e64 v7, v7, v4, s[78:79]
	v_cmp_eq_u32_e64 s[78:79], 13, v32
	s_nop 1
	v_cndmask_b32_e64 v7, v7, v5, s[78:79]
	v_cmp_eq_u32_e64 s[78:79], 14, v32
	s_nop 1
	;; [unrolled: 3-line block ×112, first 2 shown]
	v_cndmask_b32_e64 v0, v0, v2, s[78:79]
	v_cmp_eq_u32_e64 s[78:79], 8, v41
	v_mov_b32_dpp v2, v71 quad_perm:[2,3,0,1] row_mask:0xf bank_mask:0xf
	v_mov_b32_dpp v71, v75 quad_perm:[3,0,1,2] row_mask:0xf bank_mask:0xf
	v_cndmask_b32_e64 v0, v0, v8, s[78:79]
	v_cmp_eq_u32_e64 s[78:79], 9, v41
	ds_bpermute_b32 v75, v43, v7
	v_mov_b32_dpp v8, v72 quad_perm:[2,3,0,1] row_mask:0xf bank_mask:0xf
	v_cndmask_b32_e64 v0, v0, v9, s[78:79]
	v_cmp_eq_u32_e64 s[78:79], 10, v41
	ds_bpermute_b32 v9, v42, v8
	v_mov_b32_dpp v72, v76 quad_perm:[3,0,1,2] row_mask:0xf bank_mask:0xf
	v_cndmask_b32_e64 v0, v0, v10, s[78:79]
	v_cmp_eq_u32_e64 s[78:79], 11, v41
	s_nop 1
	v_cndmask_b32_e64 v0, v0, v11, s[78:79]
	v_cmp_eq_u32_e64 s[78:79], 12, v41
	s_nop 1
	v_cndmask_b32_e64 v0, v0, v4, s[78:79]
	v_cmp_eq_u32_e64 s[78:79], 13, v41
	v_mov_b32_dpp v4, v69 quad_perm:[1,2,3,0] row_mask:0xf bank_mask:0xf
	ds_bpermute_b32 v11, v47, v4
	v_cndmask_b32_e64 v0, v0, v5, s[78:79]
	v_cmp_eq_u32_e64 s[78:79], 14, v41
	v_mov_b32_dpp v5, v70 quad_perm:[1,2,3,0] row_mask:0xf bank_mask:0xf
	v_mov_b32_dpp v70, v74 quad_perm:[2,3,0,1] row_mask:0xf bank_mask:0xf
	ds_bpermute_b32 v74, v42, v6
	v_cndmask_b32_e64 v0, v0, v3, s[78:79]
	v_cmp_eq_u32_e64 s[78:79], 15, v41
	v_mov_b32_dpp v3, v14 quad_perm:[1,2,3,0] row_mask:0xf bank_mask:0xf
	ds_bpermute_b32 v14, v44, v12
	v_cndmask_b32_e64 v0, v0, v1, s[78:79]
	v_mov_b32_dpp v1, v13 quad_perm:[1,2,3,0] row_mask:0xf bank_mask:0xf
	ds_bpermute_b32 v13, v45, v1
	v_mov_b32_dpp v0, v0 quad_perm:[3,0,1,2] row_mask:0xf bank_mask:0xf
	ds_bpermute_b32 v12, v46, v3
	v_cmp_eq_u32_e64 s[78:79], 1, v49
	ds_bpermute_b32 v3, v48, v0
	ds_bpermute_b32 v10, v48, v5
	s_waitcnt lgkmcnt(5)
	v_cndmask_b32_e64 v0, v15, v74, s[78:79]
	v_cmp_eq_u32_e64 s[78:79], 2, v49
	v_mov_b32_dpp v69, v73 quad_perm:[2,3,0,1] row_mask:0xf bank_mask:0xf
	ds_bpermute_b32 v8, v43, v69
	v_cndmask_b32_e64 v0, v0, v75, s[78:79]
	v_cmp_eq_u32_e64 s[78:79], 3, v49
	ds_bpermute_b32 v7, v44, v70
	ds_bpermute_b32 v6, v45, v71
	s_waitcnt lgkmcnt(7)
	v_cndmask_b32_e64 v0, v0, v14, s[78:79]
	v_cmp_eq_u32_e64 s[78:79], 4, v49
	v_mov_b32_dpp v73, v77 quad_perm:[3,0,1,2] row_mask:0xf bank_mask:0xf
	ds_bpermute_b32 v5, v46, v72
	s_waitcnt lgkmcnt(7)
	v_cndmask_b32_e64 v0, v0, v13, s[78:79]
	v_cmp_eq_u32_e64 s[78:79], 5, v49
	ds_bpermute_b32 v4, v47, v73
	s_waitcnt lgkmcnt(7)
	v_cndmask_b32_e64 v0, v0, v12, s[78:79]
	v_cmp_eq_u32_e64 s[78:79], 6, v49
	s_nop 1
	v_cndmask_b32_e64 v0, v0, v11, s[78:79]
	v_cmp_eq_u32_e64 s[78:79], 7, v49
	s_waitcnt lgkmcnt(5)
	s_nop 0
	v_cndmask_b32_e64 v0, v0, v10, s[78:79]
	v_cmp_eq_u32_e64 s[78:79], 8, v49
	s_nop 1
	v_cndmask_b32_e64 v0, v0, v2, s[78:79]
	v_cmp_eq_u32_e64 s[78:79], 9, v49
	;; [unrolled: 3-line block ×3, first 2 shown]
	s_waitcnt lgkmcnt(4)
	s_nop 0
	v_cndmask_b32_e64 v0, v0, v8, s[78:79]
	v_cmp_eq_u32_e64 s[78:79], 11, v49
	s_waitcnt lgkmcnt(3)
	s_nop 0
	v_cndmask_b32_e64 v0, v0, v7, s[78:79]
	v_cmp_eq_u32_e64 s[78:79], 12, v49
	s_waitcnt lgkmcnt(2)
	s_nop 0
	v_cndmask_b32_e64 v0, v0, v6, s[78:79]
	v_cmp_eq_u32_e64 s[78:79], 13, v49
	s_waitcnt lgkmcnt(1)
	s_nop 0
	v_cndmask_b32_e64 v0, v0, v5, s[78:79]
	v_cmp_eq_u32_e64 s[78:79], 14, v49
	s_waitcnt lgkmcnt(0)
	s_nop 0
	v_cndmask_b32_e64 v0, v0, v4, s[78:79]
	v_cmp_eq_u32_e64 s[78:79], 15, v49
	s_nop 1
	v_cndmask_b32_e64 v0, v0, v3, s[78:79]
	v_cmp_eq_u32_e64 s[78:79], 1, v64
	s_nop 1
	v_cndmask_b32_e64 v1, v15, v74, s[78:79]
	v_cmp_eq_u32_e64 s[78:79], 2, v64
	s_nop 1
	v_cndmask_b32_e64 v1, v1, v75, s[78:79]
	v_cmp_eq_u32_e64 s[78:79], 3, v64
	s_nop 1
	v_cndmask_b32_e64 v1, v1, v14, s[78:79]
	v_cmp_eq_u32_e64 s[78:79], 4, v64
	s_nop 1
	v_cndmask_b32_e64 v1, v1, v13, s[78:79]
	v_cmp_eq_u32_e64 s[78:79], 5, v64
	s_nop 1
	v_cndmask_b32_e64 v1, v1, v12, s[78:79]
	v_cmp_eq_u32_e64 s[78:79], 6, v64
	s_nop 1
	v_cndmask_b32_e64 v1, v1, v11, s[78:79]
	v_cmp_eq_u32_e64 s[78:79], 7, v64
	s_nop 1
	v_cndmask_b32_e64 v1, v1, v10, s[78:79]
	v_cmp_eq_u32_e64 s[78:79], 8, v64
	s_nop 1
	v_cndmask_b32_e64 v1, v1, v2, s[78:79]
	v_cmp_eq_u32_e64 s[78:79], 9, v64
	s_nop 1
	v_cndmask_b32_e64 v1, v1, v9, s[78:79]
	v_cmp_eq_u32_e64 s[78:79], 10, v64
	s_nop 1
	v_cndmask_b32_e64 v1, v1, v8, s[78:79]
	v_cmp_eq_u32_e64 s[78:79], 11, v64
	s_nop 1
	v_cndmask_b32_e64 v1, v1, v7, s[78:79]
	v_cmp_eq_u32_e64 s[78:79], 12, v64
	s_nop 1
	v_cndmask_b32_e64 v1, v1, v6, s[78:79]
	v_cmp_eq_u32_e64 s[78:79], 13, v64
	s_nop 1
	v_cndmask_b32_e64 v1, v1, v5, s[78:79]
	v_cmp_eq_u32_e64 s[78:79], 14, v64
	s_nop 1
	v_cndmask_b32_e64 v1, v1, v4, s[78:79]
	v_cmp_eq_u32_e64 s[78:79], 15, v64
	s_nop 1
	v_cndmask_b32_e64 v1, v1, v3, s[78:79]
	v_cmp_eq_u32_e64 s[78:79], 1, v50
	s_nop 1
	v_cndmask_b32_e64 v69, v15, v74, s[78:79]
	v_cmp_eq_u32_e64 s[78:79], 1, v65
	s_nop 1
	v_cndmask_b32_e64 v70, v15, v74, s[78:79]
	v_cmp_eq_u32_e64 s[78:79], 1, v51
	s_nop 1
	v_cndmask_b32_e64 v71, v15, v74, s[78:79]
	v_cmp_eq_u32_e64 s[78:79], 1, v66
	s_nop 1
	v_cndmask_b32_e64 v72, v15, v74, s[78:79]
	v_cmp_eq_u32_e64 s[78:79], 1, v52
	s_nop 1
	v_cndmask_b32_e64 v73, v15, v74, s[78:79]
	v_cmp_eq_u32_e64 s[78:79], 1, v67
	s_nop 1
	v_cndmask_b32_e64 v76, v15, v74, s[78:79]
	v_cmp_eq_u32_e64 s[78:79], 1, v53
	s_nop 1
	v_cndmask_b32_e64 v77, v15, v74, s[78:79]
	v_cmp_eq_u32_e64 s[78:79], 1, v68
	s_nop 1
	v_cndmask_b32_e64 v78, v15, v74, s[78:79]
	v_cmp_eq_u32_e64 s[78:79], 1, v54
	s_nop 1
	v_cndmask_b32_e64 v79, v15, v74, s[78:79]
	v_cmp_eq_u32_e64 s[78:79], 1, v55
	s_nop 1
	v_cndmask_b32_e64 v80, v15, v74, s[78:79]
	v_cmp_eq_u32_e64 s[78:79], 1, v56
	s_nop 1
	v_cndmask_b32_e64 v81, v15, v74, s[78:79]
	v_cmp_eq_u32_e64 s[78:79], 1, v57
	s_nop 1
	v_cndmask_b32_e64 v82, v15, v74, s[78:79]
	v_cmp_eq_u32_e64 s[78:79], 1, v58
	s_nop 1
	v_cndmask_b32_e64 v83, v15, v74, s[78:79]
	v_cmp_eq_u32_e64 s[78:79], 1, v59
	s_nop 1
	v_cndmask_b32_e64 v15, v15, v74, s[78:79]
	v_cmp_eq_u32_e64 s[78:79], 2, v50
	s_nop 1
	v_cndmask_b32_e64 v69, v69, v75, s[78:79]
	v_cmp_eq_u32_e64 s[78:79], 2, v65
	s_nop 1
	v_cndmask_b32_e64 v70, v70, v75, s[78:79]
	v_cmp_eq_u32_e64 s[78:79], 2, v51
	s_nop 1
	v_cndmask_b32_e64 v71, v71, v75, s[78:79]
	v_cmp_eq_u32_e64 s[78:79], 2, v66
	s_nop 1
	v_cndmask_b32_e64 v72, v72, v75, s[78:79]
	v_cmp_eq_u32_e64 s[78:79], 2, v52
	s_nop 1
	v_cndmask_b32_e64 v73, v73, v75, s[78:79]
	v_cmp_eq_u32_e64 s[78:79], 2, v67
	s_nop 1
	v_cndmask_b32_e64 v74, v76, v75, s[78:79]
	v_cmp_eq_u32_e64 s[78:79], 2, v53
	s_nop 1
	v_cndmask_b32_e64 v76, v77, v75, s[78:79]
	v_cmp_eq_u32_e64 s[78:79], 2, v68
	s_nop 1
	v_cndmask_b32_e64 v77, v78, v75, s[78:79]
	v_cmp_eq_u32_e64 s[78:79], 2, v54
	s_nop 1
	v_cndmask_b32_e64 v78, v79, v75, s[78:79]
	v_cmp_eq_u32_e64 s[78:79], 2, v55
	s_nop 1
	v_cndmask_b32_e64 v79, v80, v75, s[78:79]
	v_cmp_eq_u32_e64 s[78:79], 2, v56
	s_nop 1
	v_cndmask_b32_e64 v80, v81, v75, s[78:79]
	v_cmp_eq_u32_e64 s[78:79], 2, v57
	s_nop 1
	v_cndmask_b32_e64 v81, v82, v75, s[78:79]
	v_cmp_eq_u32_e64 s[78:79], 2, v58
	s_nop 1
	v_cndmask_b32_e64 v82, v83, v75, s[78:79]
	v_cmp_eq_u32_e64 s[78:79], 2, v59
	s_nop 1
	v_cndmask_b32_e64 v15, v15, v75, s[78:79]
	v_cmp_eq_u32_e64 s[78:79], 3, v50
	s_nop 1
	v_cndmask_b32_e64 v69, v69, v14, s[78:79]
	v_cmp_eq_u32_e64 s[78:79], 4, v50
	s_nop 1
	v_cndmask_b32_e64 v69, v69, v13, s[78:79]
	v_cmp_eq_u32_e64 s[78:79], 5, v50
	s_nop 1
	v_cndmask_b32_e64 v69, v69, v12, s[78:79]
	v_cmp_eq_u32_e64 s[78:79], 6, v50
	s_nop 1
	v_cndmask_b32_e64 v69, v69, v11, s[78:79]
	v_cmp_eq_u32_e64 s[78:79], 7, v50
	s_nop 1
	v_cndmask_b32_e64 v69, v69, v10, s[78:79]
	v_cmp_eq_u32_e64 s[78:79], 8, v50
	s_nop 1
	v_cndmask_b32_e64 v69, v69, v2, s[78:79]
	v_cmp_eq_u32_e64 s[78:79], 9, v50
	s_nop 1
	v_cndmask_b32_e64 v69, v69, v9, s[78:79]
	v_cmp_eq_u32_e64 s[78:79], 10, v50
	s_nop 1
	v_cndmask_b32_e64 v69, v69, v8, s[78:79]
	v_cmp_eq_u32_e64 s[78:79], 11, v50
	s_nop 1
	v_cndmask_b32_e64 v69, v69, v7, s[78:79]
	v_cmp_eq_u32_e64 s[78:79], 12, v50
	s_nop 1
	v_cndmask_b32_e64 v69, v69, v6, s[78:79]
	v_cmp_eq_u32_e64 s[78:79], 13, v50
	s_nop 1
	v_cndmask_b32_e64 v69, v69, v5, s[78:79]
	v_cmp_eq_u32_e64 s[78:79], 14, v50
	s_nop 1
	v_cndmask_b32_e64 v69, v69, v4, s[78:79]
	v_cmp_eq_u32_e64 s[78:79], 15, v50
	s_nop 1
	v_cndmask_b32_e64 v69, v69, v3, s[78:79]
	v_cmp_eq_u32_e64 s[78:79], 3, v65
	s_nop 1
	v_cndmask_b32_e64 v70, v70, v14, s[78:79]
	v_cmp_eq_u32_e64 s[78:79], 4, v65
	s_nop 1
	v_cndmask_b32_e64 v70, v70, v13, s[78:79]
	v_cmp_eq_u32_e64 s[78:79], 5, v65
	s_nop 1
	v_cndmask_b32_e64 v70, v70, v12, s[78:79]
	v_cmp_eq_u32_e64 s[78:79], 6, v65
	s_nop 1
	v_cndmask_b32_e64 v70, v70, v11, s[78:79]
	v_cmp_eq_u32_e64 s[78:79], 7, v65
	s_nop 1
	v_cndmask_b32_e64 v70, v70, v10, s[78:79]
	v_cmp_eq_u32_e64 s[78:79], 8, v65
	s_nop 1
	v_cndmask_b32_e64 v70, v70, v2, s[78:79]
	v_cmp_eq_u32_e64 s[78:79], 9, v65
	s_nop 1
	v_cndmask_b32_e64 v70, v70, v9, s[78:79]
	v_cmp_eq_u32_e64 s[78:79], 10, v65
	s_nop 1
	v_cndmask_b32_e64 v70, v70, v8, s[78:79]
	v_cmp_eq_u32_e64 s[78:79], 11, v65
	s_nop 1
	v_cndmask_b32_e64 v70, v70, v7, s[78:79]
	v_cmp_eq_u32_e64 s[78:79], 12, v65
	s_nop 1
	v_cndmask_b32_e64 v70, v70, v6, s[78:79]
	v_cmp_eq_u32_e64 s[78:79], 13, v65
	s_nop 1
	v_cndmask_b32_e64 v70, v70, v5, s[78:79]
	v_cmp_eq_u32_e64 s[78:79], 14, v65
	s_nop 1
	v_cndmask_b32_e64 v70, v70, v4, s[78:79]
	v_cmp_eq_u32_e64 s[78:79], 15, v65
	s_nop 1
	v_cndmask_b32_e64 v70, v70, v3, s[78:79]
	v_cmp_eq_u32_e64 s[78:79], 3, v51
	s_nop 1
	v_cndmask_b32_e64 v71, v71, v14, s[78:79]
	v_cmp_eq_u32_e64 s[78:79], 4, v51
	s_nop 1
	v_cndmask_b32_e64 v71, v71, v13, s[78:79]
	v_cmp_eq_u32_e64 s[78:79], 5, v51
	s_nop 1
	v_cndmask_b32_e64 v71, v71, v12, s[78:79]
	v_cmp_eq_u32_e64 s[78:79], 6, v51
	s_nop 1
	v_cndmask_b32_e64 v71, v71, v11, s[78:79]
	v_cmp_eq_u32_e64 s[78:79], 7, v51
	s_nop 1
	v_cndmask_b32_e64 v71, v71, v10, s[78:79]
	v_cmp_eq_u32_e64 s[78:79], 8, v51
	s_nop 1
	v_cndmask_b32_e64 v71, v71, v2, s[78:79]
	v_cmp_eq_u32_e64 s[78:79], 9, v51
	s_nop 1
	v_cndmask_b32_e64 v71, v71, v9, s[78:79]
	v_cmp_eq_u32_e64 s[78:79], 10, v51
	s_nop 1
	v_cndmask_b32_e64 v71, v71, v8, s[78:79]
	v_cmp_eq_u32_e64 s[78:79], 11, v51
	s_nop 1
	v_cndmask_b32_e64 v71, v71, v7, s[78:79]
	v_cmp_eq_u32_e64 s[78:79], 12, v51
	s_nop 1
	v_cndmask_b32_e64 v71, v71, v6, s[78:79]
	v_cmp_eq_u32_e64 s[78:79], 13, v51
	s_nop 1
	v_cndmask_b32_e64 v71, v71, v5, s[78:79]
	v_cmp_eq_u32_e64 s[78:79], 14, v51
	s_nop 1
	v_cndmask_b32_e64 v71, v71, v4, s[78:79]
	v_cmp_eq_u32_e64 s[78:79], 15, v51
	s_nop 1
	v_cndmask_b32_e64 v71, v71, v3, s[78:79]
	v_cmp_eq_u32_e64 s[78:79], 3, v66
	s_nop 1
	v_cndmask_b32_e64 v72, v72, v14, s[78:79]
	v_cmp_eq_u32_e64 s[78:79], 4, v66
	s_nop 1
	v_cndmask_b32_e64 v72, v72, v13, s[78:79]
	v_cmp_eq_u32_e64 s[78:79], 5, v66
	s_nop 1
	v_cndmask_b32_e64 v72, v72, v12, s[78:79]
	v_cmp_eq_u32_e64 s[78:79], 6, v66
	s_nop 1
	v_cndmask_b32_e64 v72, v72, v11, s[78:79]
	v_cmp_eq_u32_e64 s[78:79], 7, v66
	s_nop 1
	v_cndmask_b32_e64 v72, v72, v10, s[78:79]
	v_cmp_eq_u32_e64 s[78:79], 8, v66
	s_nop 1
	v_cndmask_b32_e64 v72, v72, v2, s[78:79]
	v_cmp_eq_u32_e64 s[78:79], 9, v66
	s_nop 1
	v_cndmask_b32_e64 v72, v72, v9, s[78:79]
	v_cmp_eq_u32_e64 s[78:79], 10, v66
	s_nop 1
	v_cndmask_b32_e64 v72, v72, v8, s[78:79]
	v_cmp_eq_u32_e64 s[78:79], 11, v66
	s_nop 1
	v_cndmask_b32_e64 v72, v72, v7, s[78:79]
	v_cmp_eq_u32_e64 s[78:79], 12, v66
	s_nop 1
	v_cndmask_b32_e64 v72, v72, v6, s[78:79]
	v_cmp_eq_u32_e64 s[78:79], 13, v66
	s_nop 1
	v_cndmask_b32_e64 v72, v72, v5, s[78:79]
	v_cmp_eq_u32_e64 s[78:79], 14, v66
	s_nop 1
	v_cndmask_b32_e64 v72, v72, v4, s[78:79]
	v_cmp_eq_u32_e64 s[78:79], 15, v66
	s_nop 1
	v_cndmask_b32_e64 v72, v72, v3, s[78:79]
	v_cmp_eq_u32_e64 s[78:79], 3, v52
	s_nop 1
	v_cndmask_b32_e64 v73, v73, v14, s[78:79]
	v_cmp_eq_u32_e64 s[78:79], 4, v52
	s_nop 1
	v_cndmask_b32_e64 v73, v73, v13, s[78:79]
	v_cmp_eq_u32_e64 s[78:79], 5, v52
	s_nop 1
	v_cndmask_b32_e64 v73, v73, v12, s[78:79]
	v_cmp_eq_u32_e64 s[78:79], 6, v52
	s_nop 1
	v_cndmask_b32_e64 v73, v73, v11, s[78:79]
	v_cmp_eq_u32_e64 s[78:79], 7, v52
	s_nop 1
	v_cndmask_b32_e64 v73, v73, v10, s[78:79]
	v_cmp_eq_u32_e64 s[78:79], 8, v52
	s_nop 1
	v_cndmask_b32_e64 v73, v73, v2, s[78:79]
	v_cmp_eq_u32_e64 s[78:79], 9, v52
	s_nop 1
	v_cndmask_b32_e64 v73, v73, v9, s[78:79]
	v_cmp_eq_u32_e64 s[78:79], 10, v52
	s_nop 1
	v_cndmask_b32_e64 v73, v73, v8, s[78:79]
	v_cmp_eq_u32_e64 s[78:79], 11, v52
	s_nop 1
	v_cndmask_b32_e64 v73, v73, v7, s[78:79]
	v_cmp_eq_u32_e64 s[78:79], 12, v52
	s_nop 1
	v_cndmask_b32_e64 v73, v73, v6, s[78:79]
	v_cmp_eq_u32_e64 s[78:79], 13, v52
	s_nop 1
	v_cndmask_b32_e64 v73, v73, v5, s[78:79]
	v_cmp_eq_u32_e64 s[78:79], 14, v52
	s_nop 1
	v_cndmask_b32_e64 v73, v73, v4, s[78:79]
	v_cmp_eq_u32_e64 s[78:79], 15, v52
	s_nop 1
	v_cndmask_b32_e64 v73, v73, v3, s[78:79]
	v_cmp_eq_u32_e64 s[78:79], 3, v67
	s_nop 1
	v_cndmask_b32_e64 v74, v74, v14, s[78:79]
	v_cmp_eq_u32_e64 s[78:79], 4, v67
	s_nop 1
	v_cndmask_b32_e64 v74, v74, v13, s[78:79]
	v_cmp_eq_u32_e64 s[78:79], 5, v67
	s_nop 1
	v_cndmask_b32_e64 v74, v74, v12, s[78:79]
	v_cmp_eq_u32_e64 s[78:79], 6, v67
	s_nop 1
	v_cndmask_b32_e64 v74, v74, v11, s[78:79]
	v_cmp_eq_u32_e64 s[78:79], 7, v67
	s_nop 1
	v_cndmask_b32_e64 v74, v74, v10, s[78:79]
	v_cmp_eq_u32_e64 s[78:79], 8, v67
	s_nop 1
	v_cndmask_b32_e64 v74, v74, v2, s[78:79]
	v_cmp_eq_u32_e64 s[78:79], 9, v67
	s_nop 1
	v_cndmask_b32_e64 v74, v74, v9, s[78:79]
	v_cmp_eq_u32_e64 s[78:79], 10, v67
	s_nop 1
	v_cndmask_b32_e64 v74, v74, v8, s[78:79]
	v_cmp_eq_u32_e64 s[78:79], 11, v67
	s_nop 1
	v_cndmask_b32_e64 v74, v74, v7, s[78:79]
	v_cmp_eq_u32_e64 s[78:79], 12, v67
	s_nop 1
	v_cndmask_b32_e64 v74, v74, v6, s[78:79]
	v_cmp_eq_u32_e64 s[78:79], 13, v67
	s_nop 1
	v_cndmask_b32_e64 v74, v74, v5, s[78:79]
	v_cmp_eq_u32_e64 s[78:79], 14, v67
	s_nop 1
	v_cndmask_b32_e64 v74, v74, v4, s[78:79]
	v_cmp_eq_u32_e64 s[78:79], 15, v67
	s_nop 1
	v_cndmask_b32_e64 v74, v74, v3, s[78:79]
	v_cmp_eq_u32_e64 s[78:79], 3, v53
	s_nop 1
	v_cndmask_b32_e64 v75, v76, v14, s[78:79]
	v_cmp_eq_u32_e64 s[78:79], 4, v53
	s_nop 1
	v_cndmask_b32_e64 v75, v75, v13, s[78:79]
	v_cmp_eq_u32_e64 s[78:79], 5, v53
	s_nop 1
	v_cndmask_b32_e64 v75, v75, v12, s[78:79]
	v_cmp_eq_u32_e64 s[78:79], 6, v53
	s_nop 1
	v_cndmask_b32_e64 v75, v75, v11, s[78:79]
	v_cmp_eq_u32_e64 s[78:79], 7, v53
	s_nop 1
	v_cndmask_b32_e64 v75, v75, v10, s[78:79]
	v_cmp_eq_u32_e64 s[78:79], 8, v53
	s_nop 1
	v_cndmask_b32_e64 v75, v75, v2, s[78:79]
	v_cmp_eq_u32_e64 s[78:79], 9, v53
	s_nop 1
	v_cndmask_b32_e64 v75, v75, v9, s[78:79]
	v_cmp_eq_u32_e64 s[78:79], 10, v53
	s_nop 1
	v_cndmask_b32_e64 v75, v75, v8, s[78:79]
	v_cmp_eq_u32_e64 s[78:79], 11, v53
	s_nop 1
	v_cndmask_b32_e64 v75, v75, v7, s[78:79]
	v_cmp_eq_u32_e64 s[78:79], 12, v53
	s_nop 1
	v_cndmask_b32_e64 v75, v75, v6, s[78:79]
	v_cmp_eq_u32_e64 s[78:79], 13, v53
	s_nop 1
	v_cndmask_b32_e64 v75, v75, v5, s[78:79]
	v_cmp_eq_u32_e64 s[78:79], 14, v53
	s_nop 1
	v_cndmask_b32_e64 v75, v75, v4, s[78:79]
	v_cmp_eq_u32_e64 s[78:79], 15, v53
	s_nop 1
	v_cndmask_b32_e64 v75, v75, v3, s[78:79]
	v_cmp_eq_u32_e64 s[78:79], 3, v68
	s_nop 1
	v_cndmask_b32_e64 v76, v77, v14, s[78:79]
	v_cmp_eq_u32_e64 s[78:79], 4, v68
	s_nop 1
	v_cndmask_b32_e64 v76, v76, v13, s[78:79]
	v_cmp_eq_u32_e64 s[78:79], 5, v68
	s_nop 1
	v_cndmask_b32_e64 v76, v76, v12, s[78:79]
	v_cmp_eq_u32_e64 s[78:79], 6, v68
	s_nop 1
	v_cndmask_b32_e64 v76, v76, v11, s[78:79]
	v_cmp_eq_u32_e64 s[78:79], 7, v68
	s_nop 1
	v_cndmask_b32_e64 v76, v76, v10, s[78:79]
	v_cmp_eq_u32_e64 s[78:79], 8, v68
	s_nop 1
	v_cndmask_b32_e64 v76, v76, v2, s[78:79]
	v_cmp_eq_u32_e64 s[78:79], 9, v68
	s_nop 1
	v_cndmask_b32_e64 v76, v76, v9, s[78:79]
	v_cmp_eq_u32_e64 s[78:79], 10, v68
	s_nop 1
	v_cndmask_b32_e64 v76, v76, v8, s[78:79]
	v_cmp_eq_u32_e64 s[78:79], 11, v68
	s_nop 1
	v_cndmask_b32_e64 v76, v76, v7, s[78:79]
	v_cmp_eq_u32_e64 s[78:79], 12, v68
	s_nop 1
	v_cndmask_b32_e64 v76, v76, v6, s[78:79]
	v_cmp_eq_u32_e64 s[78:79], 13, v68
	s_nop 1
	v_cndmask_b32_e64 v76, v76, v5, s[78:79]
	v_cmp_eq_u32_e64 s[78:79], 14, v68
	s_nop 1
	v_cndmask_b32_e64 v76, v76, v4, s[78:79]
	v_cmp_eq_u32_e64 s[78:79], 15, v68
	s_nop 1
	v_cndmask_b32_e64 v76, v76, v3, s[78:79]
	v_cmp_eq_u32_e64 s[78:79], 3, v54
	s_nop 1
	v_cndmask_b32_e64 v77, v78, v14, s[78:79]
	v_cmp_eq_u32_e64 s[78:79], 4, v54
	s_nop 1
	v_cndmask_b32_e64 v77, v77, v13, s[78:79]
	v_cmp_eq_u32_e64 s[78:79], 5, v54
	s_nop 1
	v_cndmask_b32_e64 v77, v77, v12, s[78:79]
	v_cmp_eq_u32_e64 s[78:79], 6, v54
	s_nop 1
	v_cndmask_b32_e64 v77, v77, v11, s[78:79]
	v_cmp_eq_u32_e64 s[78:79], 7, v54
	s_nop 1
	v_cndmask_b32_e64 v77, v77, v10, s[78:79]
	v_cmp_eq_u32_e64 s[78:79], 8, v54
	s_nop 1
	v_cndmask_b32_e64 v77, v77, v2, s[78:79]
	v_cmp_eq_u32_e64 s[78:79], 9, v54
	s_nop 1
	v_cndmask_b32_e64 v77, v77, v9, s[78:79]
	v_cmp_eq_u32_e64 s[78:79], 10, v54
	s_nop 1
	v_cndmask_b32_e64 v77, v77, v8, s[78:79]
	v_cmp_eq_u32_e64 s[78:79], 11, v54
	s_nop 1
	v_cndmask_b32_e64 v77, v77, v7, s[78:79]
	v_cmp_eq_u32_e64 s[78:79], 12, v54
	s_nop 1
	v_cndmask_b32_e64 v77, v77, v6, s[78:79]
	v_cmp_eq_u32_e64 s[78:79], 13, v54
	s_nop 1
	v_cndmask_b32_e64 v77, v77, v5, s[78:79]
	v_cmp_eq_u32_e64 s[78:79], 14, v54
	s_nop 1
	v_cndmask_b32_e64 v77, v77, v4, s[78:79]
	v_cmp_eq_u32_e64 s[78:79], 15, v54
	s_nop 1
	v_cndmask_b32_e64 v77, v77, v3, s[78:79]
	v_cmp_eq_u32_e64 s[78:79], 3, v55
	s_nop 1
	v_cndmask_b32_e64 v78, v79, v14, s[78:79]
	v_cmp_eq_u32_e64 s[78:79], 4, v55
	s_nop 1
	v_cndmask_b32_e64 v78, v78, v13, s[78:79]
	v_cmp_eq_u32_e64 s[78:79], 5, v55
	s_nop 1
	v_cndmask_b32_e64 v78, v78, v12, s[78:79]
	v_cmp_eq_u32_e64 s[78:79], 6, v55
	s_nop 1
	v_cndmask_b32_e64 v78, v78, v11, s[78:79]
	v_cmp_eq_u32_e64 s[78:79], 7, v55
	s_nop 1
	v_cndmask_b32_e64 v78, v78, v10, s[78:79]
	v_cmp_eq_u32_e64 s[78:79], 8, v55
	s_nop 1
	v_cndmask_b32_e64 v78, v78, v2, s[78:79]
	v_cmp_eq_u32_e64 s[78:79], 9, v55
	s_nop 1
	v_cndmask_b32_e64 v78, v78, v9, s[78:79]
	v_cmp_eq_u32_e64 s[78:79], 10, v55
	s_nop 1
	v_cndmask_b32_e64 v78, v78, v8, s[78:79]
	v_cmp_eq_u32_e64 s[78:79], 11, v55
	s_nop 1
	v_cndmask_b32_e64 v78, v78, v7, s[78:79]
	v_cmp_eq_u32_e64 s[78:79], 12, v55
	s_nop 1
	v_cndmask_b32_e64 v78, v78, v6, s[78:79]
	v_cmp_eq_u32_e64 s[78:79], 13, v55
	s_nop 1
	v_cndmask_b32_e64 v78, v78, v5, s[78:79]
	v_cmp_eq_u32_e64 s[78:79], 14, v55
	s_nop 1
	v_cndmask_b32_e64 v78, v78, v4, s[78:79]
	v_cmp_eq_u32_e64 s[78:79], 15, v55
	s_nop 1
	v_cndmask_b32_e64 v78, v78, v3, s[78:79]
	v_cmp_eq_u32_e64 s[78:79], 3, v56
	s_nop 1
	v_cndmask_b32_e64 v79, v80, v14, s[78:79]
	v_cmp_eq_u32_e64 s[78:79], 4, v56
	s_nop 1
	v_cndmask_b32_e64 v79, v79, v13, s[78:79]
	v_cmp_eq_u32_e64 s[78:79], 5, v56
	s_nop 1
	v_cndmask_b32_e64 v79, v79, v12, s[78:79]
	v_cmp_eq_u32_e64 s[78:79], 6, v56
	s_nop 1
	v_cndmask_b32_e64 v79, v79, v11, s[78:79]
	v_cmp_eq_u32_e64 s[78:79], 7, v56
	s_nop 1
	v_cndmask_b32_e64 v79, v79, v10, s[78:79]
	v_cmp_eq_u32_e64 s[78:79], 8, v56
	s_nop 1
	v_cndmask_b32_e64 v79, v79, v2, s[78:79]
	v_cmp_eq_u32_e64 s[78:79], 9, v56
	s_nop 1
	v_cndmask_b32_e64 v79, v79, v9, s[78:79]
	v_cmp_eq_u32_e64 s[78:79], 10, v56
	s_nop 1
	v_cndmask_b32_e64 v79, v79, v8, s[78:79]
	v_cmp_eq_u32_e64 s[78:79], 11, v56
	s_nop 1
	v_cndmask_b32_e64 v79, v79, v7, s[78:79]
	v_cmp_eq_u32_e64 s[78:79], 12, v56
	s_nop 1
	v_cndmask_b32_e64 v79, v79, v6, s[78:79]
	v_cmp_eq_u32_e64 s[78:79], 13, v56
	s_nop 1
	v_cndmask_b32_e64 v79, v79, v5, s[78:79]
	v_cmp_eq_u32_e64 s[78:79], 14, v56
	s_nop 1
	v_cndmask_b32_e64 v79, v79, v4, s[78:79]
	v_cmp_eq_u32_e64 s[78:79], 15, v56
	s_nop 1
	v_cndmask_b32_e64 v79, v79, v3, s[78:79]
	v_cmp_eq_u32_e64 s[78:79], 3, v57
	s_nop 1
	v_cndmask_b32_e64 v80, v81, v14, s[78:79]
	v_cmp_eq_u32_e64 s[78:79], 4, v57
	s_nop 1
	v_cndmask_b32_e64 v80, v80, v13, s[78:79]
	v_cmp_eq_u32_e64 s[78:79], 5, v57
	s_nop 1
	v_cndmask_b32_e64 v80, v80, v12, s[78:79]
	v_cmp_eq_u32_e64 s[78:79], 6, v57
	s_nop 1
	v_cndmask_b32_e64 v80, v80, v11, s[78:79]
	v_cmp_eq_u32_e64 s[78:79], 7, v57
	s_nop 1
	v_cndmask_b32_e64 v80, v80, v10, s[78:79]
	v_cmp_eq_u32_e64 s[78:79], 8, v57
	s_nop 1
	v_cndmask_b32_e64 v80, v80, v2, s[78:79]
	v_cmp_eq_u32_e64 s[78:79], 9, v57
	s_nop 1
	v_cndmask_b32_e64 v80, v80, v9, s[78:79]
	v_cmp_eq_u32_e64 s[78:79], 10, v57
	s_nop 1
	v_cndmask_b32_e64 v80, v80, v8, s[78:79]
	v_cmp_eq_u32_e64 s[78:79], 11, v57
	s_nop 1
	v_cndmask_b32_e64 v80, v80, v7, s[78:79]
	v_cmp_eq_u32_e64 s[78:79], 12, v57
	s_nop 1
	v_cndmask_b32_e64 v80, v80, v6, s[78:79]
	v_cmp_eq_u32_e64 s[78:79], 13, v57
	s_nop 1
	v_cndmask_b32_e64 v80, v80, v5, s[78:79]
	v_cmp_eq_u32_e64 s[78:79], 14, v57
	s_nop 1
	v_cndmask_b32_e64 v80, v80, v4, s[78:79]
	v_cmp_eq_u32_e64 s[78:79], 15, v57
	s_nop 1
	v_cndmask_b32_e64 v80, v80, v3, s[78:79]
	v_cmp_eq_u32_e64 s[78:79], 3, v58
	s_nop 1
	v_cndmask_b32_e64 v81, v82, v14, s[78:79]
	v_cmp_eq_u32_e64 s[78:79], 4, v58
	s_nop 1
	v_cndmask_b32_e64 v81, v81, v13, s[78:79]
	v_cmp_eq_u32_e64 s[78:79], 5, v58
	s_nop 1
	v_cndmask_b32_e64 v81, v81, v12, s[78:79]
	v_cmp_eq_u32_e64 s[78:79], 6, v58
	s_nop 1
	v_cndmask_b32_e64 v81, v81, v11, s[78:79]
	v_cmp_eq_u32_e64 s[78:79], 7, v58
	s_nop 1
	v_cndmask_b32_e64 v81, v81, v10, s[78:79]
	v_cmp_eq_u32_e64 s[78:79], 8, v58
	s_nop 1
	v_cndmask_b32_e64 v81, v81, v2, s[78:79]
	v_cmp_eq_u32_e64 s[78:79], 9, v58
	s_nop 1
	v_cndmask_b32_e64 v81, v81, v9, s[78:79]
	v_cmp_eq_u32_e64 s[78:79], 10, v58
	s_nop 1
	v_cndmask_b32_e64 v81, v81, v8, s[78:79]
	v_cmp_eq_u32_e64 s[78:79], 11, v58
	s_nop 1
	v_cndmask_b32_e64 v81, v81, v7, s[78:79]
	v_cmp_eq_u32_e64 s[78:79], 12, v58
	s_nop 1
	v_cndmask_b32_e64 v81, v81, v6, s[78:79]
	v_cmp_eq_u32_e64 s[78:79], 13, v58
	s_nop 1
	v_cndmask_b32_e64 v81, v81, v5, s[78:79]
	v_cmp_eq_u32_e64 s[78:79], 14, v58
	s_nop 1
	v_cndmask_b32_e64 v81, v81, v4, s[78:79]
	v_cmp_eq_u32_e64 s[78:79], 15, v58
	s_nop 1
	v_cndmask_b32_e64 v81, v81, v3, s[78:79]
	v_cmp_eq_u32_e64 s[78:79], 3, v59
	s_nop 1
	v_cndmask_b32_e64 v14, v15, v14, s[78:79]
	v_cmp_eq_u32_e64 s[78:79], 4, v59
	ds_bpermute_b32 v15, v46, v74
	s_nop 0
	v_cndmask_b32_e64 v13, v14, v13, s[78:79]
	v_cmp_eq_u32_e64 s[78:79], 5, v59
	ds_bpermute_b32 v14, v46, v73
	s_nop 0
	v_cndmask_b32_e64 v12, v13, v12, s[78:79]
	v_cmp_eq_u32_e64 s[78:79], 6, v59
	;; [unrolled: 4-line block ×8, first 2 shown]
	s_nop 1
	v_cndmask_b32_e64 v2, v2, v6, s[78:79]
	v_cmp_eq_u32_e64 s[78:79], 13, v59
	ds_bpermute_b32 v6, v42, v81
	s_nop 0
	v_cndmask_b32_e64 v2, v2, v5, s[78:79]
	v_cmp_eq_u32_e64 s[78:79], 14, v59
	ds_bpermute_b32 v5, v43, v80
	;; [unrolled: 4-line block ×3, first 2 shown]
	s_nop 0
	v_cndmask_b32_e64 v7, v2, v3, s[78:79]
	ds_bpermute_b32 v2, v48, v69
	ds_bpermute_b32 v3, v48, v70
	ds_bpermute_b32 v7, v42, v7
	s_cbranch_scc1 .LBB19_2
; %bb.3:
	s_branch .LBB19_5
.LBB19_4:
	s_waitcnt lgkmcnt(1)
	v_mov_b64_e32 v[2:3], v[18:19]
	v_mov_b64_e32 v[12:13], v[20:21]
	;; [unrolled: 1-line block ×6, first 2 shown]
	s_waitcnt lgkmcnt(0)
	v_mov_b64_e32 v[6:7], v[30:31]
	v_mov_b64_e32 v[0:1], v[16:17]
.LBB19_5:
	s_load_dwordx2 s[0:1], s[0:1], 0x0
	v_lshl_or_b32 v16, s2, 12, v16
	v_mov_b32_e32 v17, 0
	s_waitcnt lgkmcnt(0)
	v_lshl_add_u64 v[16:17], v[16:17], 2, s[0:1]
	global_store_dwordx4 v[16:17], v[0:3], off
	global_store_dwordx4 v[16:17], v[12:15], off offset:16
	global_store_dwordx4 v[16:17], v[8:11], off offset:32
	;; [unrolled: 1-line block ×3, first 2 shown]
	s_endpgm
.LBB19_6:
                                        ; implicit-def: $vgpr0_vgpr1
                                        ; implicit-def: $vgpr6_vgpr7
                                        ; implicit-def: $vgpr10_vgpr11
                                        ; implicit-def: $vgpr14_vgpr15
	s_cbranch_execnz .LBB19_4
	s_branch .LBB19_5
	.section	.rodata,"a",@progbits
	.p2align	6, 0x0
	.amdhsa_kernel _Z20warp_exchange_kernelILj256ELj16ELj32EN6common25BlockedToStripedShuffleOpEiEvPT3_j
		.amdhsa_group_segment_fixed_size 0
		.amdhsa_private_segment_fixed_size 0
		.amdhsa_kernarg_size 12
		.amdhsa_user_sgpr_count 2
		.amdhsa_user_sgpr_dispatch_ptr 0
		.amdhsa_user_sgpr_queue_ptr 0
		.amdhsa_user_sgpr_kernarg_segment_ptr 1
		.amdhsa_user_sgpr_dispatch_id 0
		.amdhsa_user_sgpr_kernarg_preload_length 0
		.amdhsa_user_sgpr_kernarg_preload_offset 0
		.amdhsa_user_sgpr_private_segment_size 0
		.amdhsa_uses_dynamic_stack 0
		.amdhsa_enable_private_segment 0
		.amdhsa_system_sgpr_workgroup_id_x 1
		.amdhsa_system_sgpr_workgroup_id_y 0
		.amdhsa_system_sgpr_workgroup_id_z 0
		.amdhsa_system_sgpr_workgroup_info 0
		.amdhsa_system_vgpr_workitem_id 0
		.amdhsa_next_free_vgpr 84
		.amdhsa_next_free_sgpr 80
		.amdhsa_accum_offset 84
		.amdhsa_reserve_vcc 1
		.amdhsa_float_round_mode_32 0
		.amdhsa_float_round_mode_16_64 0
		.amdhsa_float_denorm_mode_32 3
		.amdhsa_float_denorm_mode_16_64 3
		.amdhsa_dx10_clamp 1
		.amdhsa_ieee_mode 1
		.amdhsa_fp16_overflow 0
		.amdhsa_tg_split 0
		.amdhsa_exception_fp_ieee_invalid_op 0
		.amdhsa_exception_fp_denorm_src 0
		.amdhsa_exception_fp_ieee_div_zero 0
		.amdhsa_exception_fp_ieee_overflow 0
		.amdhsa_exception_fp_ieee_underflow 0
		.amdhsa_exception_fp_ieee_inexact 0
		.amdhsa_exception_int_div_zero 0
	.end_amdhsa_kernel
	.section	.text._Z20warp_exchange_kernelILj256ELj16ELj32EN6common25BlockedToStripedShuffleOpEiEvPT3_j,"axG",@progbits,_Z20warp_exchange_kernelILj256ELj16ELj32EN6common25BlockedToStripedShuffleOpEiEvPT3_j,comdat
.Lfunc_end19:
	.size	_Z20warp_exchange_kernelILj256ELj16ELj32EN6common25BlockedToStripedShuffleOpEiEvPT3_j, .Lfunc_end19-_Z20warp_exchange_kernelILj256ELj16ELj32EN6common25BlockedToStripedShuffleOpEiEvPT3_j
                                        ; -- End function
	.section	.AMDGPU.csdata,"",@progbits
; Kernel info:
; codeLenInByte = 10376
; NumSgprs: 86
; NumVgprs: 84
; NumAgprs: 0
; TotalNumVgprs: 84
; ScratchSize: 0
; MemoryBound: 0
; FloatMode: 240
; IeeeMode: 1
; LDSByteSize: 0 bytes/workgroup (compile time only)
; SGPRBlocks: 10
; VGPRBlocks: 10
; NumSGPRsForWavesPerEU: 86
; NumVGPRsForWavesPerEU: 84
; AccumOffset: 84
; Occupancy: 5
; WaveLimiterHint : 0
; COMPUTE_PGM_RSRC2:SCRATCH_EN: 0
; COMPUTE_PGM_RSRC2:USER_SGPR: 2
; COMPUTE_PGM_RSRC2:TRAP_HANDLER: 0
; COMPUTE_PGM_RSRC2:TGID_X_EN: 1
; COMPUTE_PGM_RSRC2:TGID_Y_EN: 0
; COMPUTE_PGM_RSRC2:TGID_Z_EN: 0
; COMPUTE_PGM_RSRC2:TIDIG_COMP_CNT: 0
; COMPUTE_PGM_RSRC3_GFX90A:ACCUM_OFFSET: 20
; COMPUTE_PGM_RSRC3_GFX90A:TG_SPLIT: 0
	.section	.text._Z20warp_exchange_kernelILj256ELj32ELj32EN6common25BlockedToStripedShuffleOpEiEvPT3_j,"axG",@progbits,_Z20warp_exchange_kernelILj256ELj32ELj32EN6common25BlockedToStripedShuffleOpEiEvPT3_j,comdat
	.protected	_Z20warp_exchange_kernelILj256ELj32ELj32EN6common25BlockedToStripedShuffleOpEiEvPT3_j ; -- Begin function _Z20warp_exchange_kernelILj256ELj32ELj32EN6common25BlockedToStripedShuffleOpEiEvPT3_j
	.globl	_Z20warp_exchange_kernelILj256ELj32ELj32EN6common25BlockedToStripedShuffleOpEiEvPT3_j
	.p2align	8
	.type	_Z20warp_exchange_kernelILj256ELj32ELj32EN6common25BlockedToStripedShuffleOpEiEvPT3_j,@function
_Z20warp_exchange_kernelILj256ELj32ELj32EN6common25BlockedToStripedShuffleOpEiEvPT3_j: ; @_Z20warp_exchange_kernelILj256ELj32ELj32EN6common25BlockedToStripedShuffleOpEiEvPT3_j
; %bb.0:
	s_load_dword s3, s[0:1], 0x8
	v_lshlrev_b32_e32 v32, 5, v0
	v_or_b32_e32 v5, 1, v32
	v_or_b32_e32 v7, 3, v32
	;; [unrolled: 1-line block ×30, first 2 shown]
	s_waitcnt lgkmcnt(0)
	s_cmp_eq_u32 s3, 0
	v_or_b32_e32 v2, 30, v32
	s_cbranch_scc1 .LBB20_3
; %bb.1:
	v_mbcnt_lo_u32_b32 v4, -1, 0
	v_mbcnt_hi_u32_b32 v4, -1, v4
	v_and_b32_e32 v34, 16, v4
	v_and_b32_e32 v50, 8, v4
	;; [unrolled: 1-line block ×5, first 2 shown]
	v_mov_b32_e32 v88, 0x44
	v_cmp_eq_u32_e32 vcc, 0, v34
	v_mov_b32_e32 v85, 0x48
	v_mov_b32_e32 v86, 0x4c
	;; [unrolled: 1-line block ×14, first 2 shown]
	v_lshlrev_b32_e32 v71, 2, v72
	v_cmp_eq_u32_e64 s[6:7], 0, v72
	v_cmp_eq_u32_e64 s[8:9], 0, v4
	v_lshlrev_b32_e32 v4, 2, v4
	v_lshlrev_b32_e32 v33, 2, v34
	v_mov_b32_e32 v61, 0
	v_cndmask_b32_e32 v34, 4, v88, vcc
	v_cndmask_b32_e32 v35, 8, v85, vcc
	;; [unrolled: 1-line block ×15, first 2 shown]
	v_lshlrev_b32_e32 v49, 2, v50
	v_cmp_eq_u32_e32 vcc, 0, v50
	v_lshlrev_b32_e32 v63, 2, v62
	v_cmp_eq_u32_e64 s[4:5], 0, v62
	v_xor_b32_e32 v71, 8, v71
	v_cndmask_b32_e64 v89, 4, 12, s[6:7]
	v_cndmask_b32_e64 v90, 8, 12, s[8:9]
	v_xor_b32_e32 v4, 4, v4
	v_xad_u32 v33, v33, 64, v61
	v_xad_u32 v49, v49, 32, v61
	v_cndmask_b32_e64 v50, 4, 36, vcc
	v_cndmask_b32_e64 v51, 8, 40, vcc
	;; [unrolled: 1-line block ×3, first 2 shown]
	v_cndmask_b32_e32 v53, 64, v77, vcc
	v_cndmask_b32_e32 v54, v88, v78, vcc
	;; [unrolled: 1-line block ×8, first 2 shown]
	v_xad_u32 v61, v63, 16, v61
	v_cndmask_b32_e64 v62, 4, 20, s[4:5]
	v_cndmask_b32_e64 v63, 64, v73, s[4:5]
	;; [unrolled: 1-line block ×9, first 2 shown]
	v_or_b32_e32 v71, 0, v71
	v_cndmask_b32_e64 v72, v73, v75, s[6:7]
	v_cndmask_b32_e64 v73, v73, v74, s[8:9]
	;; [unrolled: 1-line block ×15, first 2 shown]
	v_or_b32_e32 v87, 0, v4
	v_cndmask_b32_e64 v88, 64, v88, s[8:9]
	v_or_b32_e32 v89, 0, v89
	v_or_b32_e32 v90, 0, v90
	v_cndmask_b32_e64 v91, 16, 48, vcc
	v_cndmask_b32_e64 v92, 20, 52, vcc
	;; [unrolled: 1-line block ×4, first 2 shown]
	v_cndmask_b32_e64 v95, 8, 24, s[4:5]
	v_cndmask_b32_e64 v96, 12, 28, s[4:5]
	;; [unrolled: 1-line block ×18, first 2 shown]
	v_mov_b32_e32 v4, v32
.LBB20_2:                               ; =>This Inner Loop Header: Depth=1
	scratch_store_dwordx4 off, v[4:7], off
	s_waitcnt vmcnt(6)
	scratch_store_dwordx4 off, v[28:31], off offset:16
	scratch_store_dwordx4 off, v[16:19], off offset:32
	;; [unrolled: 1-line block ×4, first 2 shown]
	scratch_load_dword v4, v33, off
	s_add_i32 s3, s3, -1
	s_waitcnt vmcnt(10)
	scratch_store_dwordx4 off, v[12:15], off offset:80
	s_waitcnt vmcnt(10)
	scratch_store_dwordx4 off, v[8:11], off offset:96
	s_cmp_lg_u32 s3, 0
	s_waitcnt vmcnt(2)
	ds_swizzle_b32 v4, v4 offset:swizzle(SWAP,16)
	s_waitcnt lgkmcnt(0)
	scratch_store_dword v33, v4, off
	scratch_load_dword v4, v34, off
	s_waitcnt vmcnt(0)
	ds_swizzle_b32 v4, v4 offset:swizzle(SWAP,16)
	s_waitcnt lgkmcnt(0)
	scratch_store_dword v34, v4, off
	scratch_load_dword v4, v35, off
	;; [unrolled: 5-line block ×9, first 2 shown]
	s_nop 0
	scratch_load_dword v5, v49, off
	s_waitcnt vmcnt(1)
	ds_swizzle_b32 v4, v4 offset:swizzle(SWAP,16)
	s_waitcnt vmcnt(0)
	ds_swizzle_b32 v5, v5 offset:swizzle(SWAP,8)
	s_waitcnt lgkmcnt(1)
	scratch_store_dword v42, v4, off
	s_waitcnt lgkmcnt(0)
	scratch_store_dword v49, v5, off
	scratch_load_dword v4, v43, off
	s_nop 0
	scratch_load_dword v5, v50, off
	s_waitcnt vmcnt(1)
	ds_swizzle_b32 v4, v4 offset:swizzle(SWAP,16)
	s_waitcnt vmcnt(0)
	ds_swizzle_b32 v5, v5 offset:swizzle(SWAP,8)
	s_waitcnt lgkmcnt(1)
	scratch_store_dword v43, v4, off
	s_waitcnt lgkmcnt(0)
	scratch_store_dword v50, v5, off
	scratch_load_dword v4, v44, off
	s_nop 0
	scratch_load_dword v5, v51, off
	s_nop 0
	scratch_store_dwordx4 off, v[0:3], off offset:112
	s_waitcnt vmcnt(2)
	ds_swizzle_b32 v0, v4 offset:swizzle(SWAP,16)
	s_waitcnt vmcnt(1)
	ds_swizzle_b32 v1, v5 offset:swizzle(SWAP,8)
	s_waitcnt lgkmcnt(1)
	scratch_store_dword v44, v0, off
	s_waitcnt lgkmcnt(0)
	scratch_store_dword v51, v1, off
	scratch_load_dword v0, v45, off
	s_nop 0
	scratch_load_dword v1, v52, off
	s_waitcnt vmcnt(1)
	ds_swizzle_b32 v0, v0 offset:swizzle(SWAP,16)
	s_waitcnt vmcnt(0)
	ds_swizzle_b32 v1, v1 offset:swizzle(SWAP,8)
	s_waitcnt lgkmcnt(1)
	scratch_store_dword v45, v0, off
	s_waitcnt lgkmcnt(0)
	scratch_store_dword v52, v1, off
	scratch_load_dword v0, v46, off
	s_nop 0
	scratch_load_dword v1, v91, off
	;; [unrolled: 11-line block ×3, first 2 shown]
	scratch_load_dword v2, v61, off
	s_waitcnt vmcnt(2)
	ds_swizzle_b32 v0, v0 offset:swizzle(SWAP,16)
	s_waitcnt vmcnt(1)
	ds_swizzle_b32 v1, v1 offset:swizzle(SWAP,8)
	;; [unrolled: 2-line block ×3, first 2 shown]
	s_waitcnt lgkmcnt(2)
	scratch_store_dword v47, v0, off
	s_waitcnt lgkmcnt(1)
	scratch_store_dword v92, v1, off
	scratch_load_dword v0, v48, off
	s_nop 0
	scratch_load_dword v1, v93, off
	s_waitcnt vmcnt(1)
	ds_swizzle_b32 v0, v0 offset:swizzle(SWAP,16)
	s_waitcnt vmcnt(0)
	ds_swizzle_b32 v1, v1 offset:swizzle(SWAP,8)
	s_waitcnt lgkmcnt(2)
	scratch_store_dword v61, v2, off
	scratch_load_dword v2, v62, off
	s_waitcnt lgkmcnt(1)
	scratch_store_dword v48, v0, off
	s_waitcnt lgkmcnt(0)
	scratch_store_dword v93, v1, off
	scratch_load_dword v0, v53, off
	s_nop 0
	scratch_load_dword v1, v94, off
	s_waitcnt vmcnt(4)
	ds_swizzle_b32 v2, v2 offset:swizzle(SWAP,4)
	s_waitcnt vmcnt(1)
	ds_swizzle_b32 v0, v0 offset:swizzle(SWAP,8)
	;; [unrolled: 2-line block ×3, first 2 shown]
	s_waitcnt lgkmcnt(2)
	scratch_store_dword v62, v2, off
	scratch_load_dword v2, v95, off
	s_waitcnt lgkmcnt(1)
	scratch_store_dword v53, v0, off
	scratch_load_dword v0, v54, off
	s_waitcnt vmcnt(2)
	ds_swizzle_b32 v2, v2 offset:swizzle(SWAP,4)
	s_waitcnt lgkmcnt(1)
	scratch_store_dword v94, v1, off
	s_waitcnt lgkmcnt(0)
	scratch_store_dword v95, v2, off
	s_waitcnt vmcnt(2)
	ds_swizzle_b32 v0, v0 offset:swizzle(SWAP,8)
	scratch_load_dword v1, v96, off
	scratch_load_dword v2, v71, off
	s_waitcnt vmcnt(1)
	ds_swizzle_b32 v1, v1 offset:swizzle(SWAP,4)
	s_waitcnt lgkmcnt(1)
	scratch_store_dword v54, v0, off
	scratch_load_dword v0, v55, off
	s_waitcnt vmcnt(2)
	ds_swizzle_b32 v2, v2 offset:swizzle(SWAP,2)
	s_waitcnt lgkmcnt(1)
	scratch_store_dword v96, v1, off
	s_waitcnt lgkmcnt(0)
	scratch_store_dword v71, v2, off
	scratch_load_dword v1, v97, off
	s_nop 0
	scratch_load_dword v2, v89, off
	scratch_load_dword v3, v101, off
	s_waitcnt vmcnt(5)
	ds_swizzle_b32 v0, v0 offset:swizzle(SWAP,8)
	s_waitcnt vmcnt(2)
	ds_swizzle_b32 v1, v1 offset:swizzle(SWAP,4)
	s_waitcnt lgkmcnt(1)
	scratch_store_dword v55, v0, off
	scratch_load_dword v0, v56, off
	s_waitcnt vmcnt(3)
	ds_swizzle_b32 v2, v2 offset:swizzle(SWAP,2)
	s_waitcnt vmcnt(2)
	ds_swizzle_b32 v3, v3 offset:swizzle(SWAP,2)
	s_waitcnt lgkmcnt(2)
	scratch_store_dword v97, v1, off
	s_waitcnt lgkmcnt(1)
	scratch_store_dword v89, v2, off
	;; [unrolled: 2-line block ×3, first 2 shown]
	scratch_load_dword v1, v98, off
	scratch_load_dword v2, v102, off
	s_nop 0
	scratch_load_dword v3, v90, off
	s_waitcnt vmcnt(6)
	ds_swizzle_b32 v0, v0 offset:swizzle(SWAP,8)
	s_waitcnt vmcnt(2)
	ds_swizzle_b32 v1, v1 offset:swizzle(SWAP,4)
	s_waitcnt lgkmcnt(1)
	scratch_store_dword v56, v0, off
	scratch_load_dword v0, v57, off
	s_waitcnt vmcnt(3)
	ds_swizzle_b32 v2, v2 offset:swizzle(SWAP,2)
	s_waitcnt vmcnt(2)
	ds_swizzle_b32 v3, v3 offset:swizzle(SWAP,1)
	s_waitcnt lgkmcnt(2)
	scratch_store_dword v98, v1, off
	scratch_load_dword v1, v99, off
	s_nop 0
	scratch_load_dword v4, v87, off
	s_waitcnt vmcnt(3)
	ds_swizzle_b32 v0, v0 offset:swizzle(SWAP,8)
	s_waitcnt lgkmcnt(2)
	scratch_store_dword v102, v2, off
	s_waitcnt vmcnt(2)
	ds_swizzle_b32 v1, v1 offset:swizzle(SWAP,4)
	s_waitcnt lgkmcnt(1)
	scratch_store_dword v57, v0, off
	scratch_load_dword v0, v58, off
	s_waitcnt vmcnt(0)
	ds_swizzle_b32 v0, v0 offset:swizzle(SWAP,8)
	s_waitcnt lgkmcnt(1)
	scratch_store_dword v99, v1, off
	scratch_load_dword v1, v100, off
	s_nop 0
	scratch_load_dword v2, v103, off
	scratch_load_dword v8, v107, off
	s_waitcnt vmcnt(2)
	ds_swizzle_b32 v1, v1 offset:swizzle(SWAP,4)
	s_waitcnt lgkmcnt(1)
	scratch_store_dword v58, v0, off
	scratch_load_dword v0, v59, off
	s_nop 0
	scratch_load_dword v5, v63, off
	s_waitcnt vmcnt(4)
	ds_swizzle_b32 v2, v2 offset:swizzle(SWAP,2)
	s_waitcnt lgkmcnt(1)
	scratch_store_dword v100, v1, off
	s_waitcnt lgkmcnt(0)
	scratch_store_dword v103, v2, off
	scratch_load_dword v1, v104, off
	s_nop 0
	scratch_load_dword v2, v108, off
	s_waitcnt vmcnt(7)
	ds_swizzle_b32 v8, v8 offset:swizzle(SWAP,1)
	s_waitcnt vmcnt(5)
	ds_swizzle_b32 v0, v0 offset:swizzle(SWAP,8)
	;; [unrolled: 2-line block ×3, first 2 shown]
	s_waitcnt lgkmcnt(1)
	scratch_store_dword v59, v0, off
	s_waitcnt lgkmcnt(0)
	scratch_store_dword v63, v5, off
	scratch_load_dword v0, v60, off
	s_nop 0
	scratch_load_dword v5, v64, off
	s_waitcnt vmcnt(5)
	ds_swizzle_b32 v1, v1 offset:swizzle(SWAP,2)
	s_waitcnt vmcnt(4)
	ds_swizzle_b32 v2, v2 offset:swizzle(SWAP,1)
	s_waitcnt lgkmcnt(1)
	scratch_store_dword v104, v1, off
	scratch_load_dword v1, v105, off
	s_nop 0
	scratch_load_dword v9, v109, off
	s_waitcnt vmcnt(4)
	ds_swizzle_b32 v0, v0 offset:swizzle(SWAP,8)
	s_waitcnt vmcnt(3)
	ds_swizzle_b32 v5, v5 offset:swizzle(SWAP,4)
	s_waitcnt lgkmcnt(1)
	scratch_store_dword v60, v0, off
	s_waitcnt lgkmcnt(0)
	scratch_store_dword v64, v5, off
	scratch_load_dword v0, v65, off
	s_nop 0
	scratch_load_dword v5, v67, off
	s_waitcnt vmcnt(5)
	ds_swizzle_b32 v1, v1 offset:swizzle(SWAP,2)
	s_waitcnt lgkmcnt(0)
	scratch_store_dword v105, v1, off
	scratch_load_dword v1, v106, off
	s_nop 0
	scratch_load_dword v10, v110, off
	s_waitcnt vmcnt(4)
	ds_swizzle_b32 v0, v0 offset:swizzle(SWAP,4)
	s_waitcnt vmcnt(3)
	ds_swizzle_b32 v5, v5 offset:swizzle(SWAP,4)
	s_waitcnt lgkmcnt(1)
	scratch_store_dword v65, v0, off
	s_waitcnt lgkmcnt(0)
	scratch_store_dword v67, v5, off
	scratch_load_dword v0, v68, off
	s_nop 0
	scratch_load_dword v5, v66, off
	s_waitcnt vmcnt(5)
	ds_swizzle_b32 v1, v1 offset:swizzle(SWAP,2)
	s_waitcnt lgkmcnt(0)
	scratch_store_dword v106, v1, off
	scratch_load_dword v1, v84, off
	s_nop 0
	scratch_load_dword v11, v111, off
	s_waitcnt vmcnt(4)
	ds_swizzle_b32 v0, v0 offset:swizzle(SWAP,4)
	scratch_store_dword v90, v3, off
	ds_swizzle_b32 v3, v4 offset:swizzle(SWAP,1)
	s_waitcnt lgkmcnt(1)
	scratch_store_dword v68, v0, off
	scratch_load_dword v0, v69, off
	s_waitcnt vmcnt(4)
	ds_swizzle_b32 v1, v1 offset:swizzle(SWAP,2)
	s_waitcnt lgkmcnt(1)
	scratch_store_dword v87, v3, off
	ds_swizzle_b32 v3, v5 offset:swizzle(SWAP,4)
	s_waitcnt lgkmcnt(0)
	scratch_store_dword v66, v3, off
	scratch_store_dword v84, v1, off
	scratch_load_dword v1, v86, off
	s_nop 0
	scratch_load_dword v3, v112, off
	scratch_load_dwordx4 v[4:7], off, off
	s_waitcnt vmcnt(6)
	ds_swizzle_b32 v0, v0 offset:swizzle(SWAP,4)
	s_waitcnt lgkmcnt(0)
	scratch_store_dword v69, v0, off
	scratch_load_dword v0, v70, off
	s_nop 0
	scratch_load_dword v12, v72, off
	scratch_load_dword v13, v76, off
	s_waitcnt vmcnt(6)
	ds_swizzle_b32 v1, v1 offset:swizzle(SWAP,2)
	s_waitcnt lgkmcnt(0)
	scratch_store_dword v86, v1, off
	scratch_load_dword v1, v88, off
	s_waitcnt vmcnt(4)
	ds_swizzle_b32 v0, v0 offset:swizzle(SWAP,4)
	s_waitcnt vmcnt(3)
	ds_swizzle_b32 v12, v12 offset:swizzle(SWAP,2)
	;; [unrolled: 2-line block ×3, first 2 shown]
	s_waitcnt lgkmcnt(2)
	scratch_store_dword v70, v0, off
	s_waitcnt lgkmcnt(1)
	scratch_store_dword v72, v12, off
	;; [unrolled: 2-line block ×3, first 2 shown]
	scratch_load_dword v0, v80, off
	scratch_load_dword v12, v74, off
	s_nop 0
	scratch_load_dword v13, v78, off
	scratch_load_dword v14, v85, off
	s_waitcnt vmcnt(7)
	ds_swizzle_b32 v1, v1 offset:swizzle(SWAP,1)
	s_waitcnt vmcnt(3)
	ds_swizzle_b32 v0, v0 offset:swizzle(SWAP,2)
	;; [unrolled: 2-line block ×4, first 2 shown]
	s_waitcnt lgkmcnt(2)
	scratch_store_dword v80, v0, off
	scratch_load_dword v0, v82, off
	s_waitcnt lgkmcnt(1)
	scratch_store_dword v74, v12, off
	s_waitcnt lgkmcnt(0)
	scratch_store_dword v78, v13, off
	scratch_load_dword v12, v73, off
	s_nop 0
	scratch_load_dword v13, v75, off
	scratch_load_dword v15, v77, off
	scratch_load_dword v28, v79, off
	s_waitcnt vmcnt(6)
	ds_swizzle_b32 v0, v0 offset:swizzle(SWAP,2)
	s_waitcnt lgkmcnt(0)
	scratch_store_dword v82, v0, off
	scratch_load_dword v0, v81, off
	s_nop 0
	scratch_load_dword v113, v83, off
	s_waitcnt vmcnt(1)
	ds_swizzle_b32 v0, v0 offset:swizzle(SWAP,1)
	scratch_store_dword v108, v2, off
	ds_swizzle_b32 v2, v9 offset:swizzle(SWAP,1)
	scratch_store_dword v88, v1, off
	;; [unrolled: 2-line block ×3, first 2 shown]
	ds_swizzle_b32 v8, v28 offset:swizzle(SWAP,1)
	s_waitcnt lgkmcnt(2)
	scratch_store_dword v109, v2, off
	ds_swizzle_b32 v2, v10 offset:swizzle(SWAP,1)
	s_waitcnt lgkmcnt(2)
	scratch_store_dword v85, v1, off
	ds_swizzle_b32 v1, v12 offset:swizzle(SWAP,1)
	scratch_load_dwordx4 v[24:27], off, off offset:64
	s_waitcnt lgkmcnt(1)
	scratch_store_dword v110, v2, off
	ds_swizzle_b32 v2, v11 offset:swizzle(SWAP,1)
	scratch_load_dwordx4 v[16:19], off, off offset:32
	s_waitcnt lgkmcnt(0)
	scratch_store_dword v111, v2, off
	ds_swizzle_b32 v2, v3 offset:swizzle(SWAP,1)
	ds_swizzle_b32 v3, v15 offset:swizzle(SWAP,1)
	s_waitcnt lgkmcnt(1)
	scratch_store_dword v112, v2, off
	scratch_load_dwordx4 v[20:23], off, off offset:48
	ds_swizzle_b32 v2, v13 offset:swizzle(SWAP,1)
	scratch_store_dword v73, v1, off
	s_waitcnt lgkmcnt(0)
	scratch_store_dword v75, v2, off
	scratch_store_dword v77, v3, off
	s_waitcnt vmcnt(14)
	ds_swizzle_b32 v1, v113 offset:swizzle(SWAP,1)
	scratch_store_dword v79, v8, off
	scratch_load_dwordx4 v[28:31], off, off offset:16
	scratch_load_dwordx4 v[12:15], off, off offset:80
	s_nop 0
	scratch_load_dwordx4 v[8:11], off, off offset:96
	s_nop 0
	scratch_store_dword v81, v0, off
	s_waitcnt lgkmcnt(0)
	scratch_store_dword v83, v1, off
	scratch_load_dwordx4 v[0:3], off, off offset:112
	; wave barrier
	s_cbranch_scc1 .LBB20_2
	s_branch .LBB20_4
.LBB20_3:
	v_mov_b32_e32 v33, v5
	v_mov_b64_e32 v[4:5], v[32:33]
.LBB20_4:
	s_load_dwordx2 s[0:1], s[0:1], 0x0
	v_lshl_or_b32 v32, s2, 13, v32
	v_mov_b32_e32 v33, 0
	s_waitcnt lgkmcnt(0)
	v_lshl_add_u64 v[32:33], v[32:33], 2, s[0:1]
	global_store_dwordx4 v[32:33], v[4:7], off
	s_waitcnt vmcnt(6)
	global_store_dwordx4 v[32:33], v[28:31], off offset:16
	global_store_dwordx4 v[32:33], v[16:19], off offset:32
	;; [unrolled: 1-line block ×4, first 2 shown]
	s_waitcnt vmcnt(9)
	global_store_dwordx4 v[32:33], v[12:15], off offset:80
	s_waitcnt vmcnt(9)
	global_store_dwordx4 v[32:33], v[8:11], off offset:96
	;; [unrolled: 2-line block ×3, first 2 shown]
	s_endpgm
	.section	.rodata,"a",@progbits
	.p2align	6, 0x0
	.amdhsa_kernel _Z20warp_exchange_kernelILj256ELj32ELj32EN6common25BlockedToStripedShuffleOpEiEvPT3_j
		.amdhsa_group_segment_fixed_size 0
		.amdhsa_private_segment_fixed_size 144
		.amdhsa_kernarg_size 12
		.amdhsa_user_sgpr_count 2
		.amdhsa_user_sgpr_dispatch_ptr 0
		.amdhsa_user_sgpr_queue_ptr 0
		.amdhsa_user_sgpr_kernarg_segment_ptr 1
		.amdhsa_user_sgpr_dispatch_id 0
		.amdhsa_user_sgpr_kernarg_preload_length 0
		.amdhsa_user_sgpr_kernarg_preload_offset 0
		.amdhsa_user_sgpr_private_segment_size 0
		.amdhsa_uses_dynamic_stack 0
		.amdhsa_enable_private_segment 1
		.amdhsa_system_sgpr_workgroup_id_x 1
		.amdhsa_system_sgpr_workgroup_id_y 0
		.amdhsa_system_sgpr_workgroup_id_z 0
		.amdhsa_system_sgpr_workgroup_info 0
		.amdhsa_system_vgpr_workitem_id 0
		.amdhsa_next_free_vgpr 114
		.amdhsa_next_free_sgpr 10
		.amdhsa_accum_offset 116
		.amdhsa_reserve_vcc 1
		.amdhsa_float_round_mode_32 0
		.amdhsa_float_round_mode_16_64 0
		.amdhsa_float_denorm_mode_32 3
		.amdhsa_float_denorm_mode_16_64 3
		.amdhsa_dx10_clamp 1
		.amdhsa_ieee_mode 1
		.amdhsa_fp16_overflow 0
		.amdhsa_tg_split 0
		.amdhsa_exception_fp_ieee_invalid_op 0
		.amdhsa_exception_fp_denorm_src 0
		.amdhsa_exception_fp_ieee_div_zero 0
		.amdhsa_exception_fp_ieee_overflow 0
		.amdhsa_exception_fp_ieee_underflow 0
		.amdhsa_exception_fp_ieee_inexact 0
		.amdhsa_exception_int_div_zero 0
	.end_amdhsa_kernel
	.section	.text._Z20warp_exchange_kernelILj256ELj32ELj32EN6common25BlockedToStripedShuffleOpEiEvPT3_j,"axG",@progbits,_Z20warp_exchange_kernelILj256ELj32ELj32EN6common25BlockedToStripedShuffleOpEiEvPT3_j,comdat
.Lfunc_end20:
	.size	_Z20warp_exchange_kernelILj256ELj32ELj32EN6common25BlockedToStripedShuffleOpEiEvPT3_j, .Lfunc_end20-_Z20warp_exchange_kernelILj256ELj32ELj32EN6common25BlockedToStripedShuffleOpEiEvPT3_j
                                        ; -- End function
	.section	.AMDGPU.csdata,"",@progbits
; Kernel info:
; codeLenInByte = 3792
; NumSgprs: 16
; NumVgprs: 114
; NumAgprs: 0
; TotalNumVgprs: 114
; ScratchSize: 144
; MemoryBound: 0
; FloatMode: 240
; IeeeMode: 1
; LDSByteSize: 0 bytes/workgroup (compile time only)
; SGPRBlocks: 1
; VGPRBlocks: 14
; NumSGPRsForWavesPerEU: 16
; NumVGPRsForWavesPerEU: 114
; AccumOffset: 116
; Occupancy: 4
; WaveLimiterHint : 0
; COMPUTE_PGM_RSRC2:SCRATCH_EN: 1
; COMPUTE_PGM_RSRC2:USER_SGPR: 2
; COMPUTE_PGM_RSRC2:TRAP_HANDLER: 0
; COMPUTE_PGM_RSRC2:TGID_X_EN: 1
; COMPUTE_PGM_RSRC2:TGID_Y_EN: 0
; COMPUTE_PGM_RSRC2:TGID_Z_EN: 0
; COMPUTE_PGM_RSRC2:TIDIG_COMP_CNT: 0
; COMPUTE_PGM_RSRC3_GFX90A:ACCUM_OFFSET: 28
; COMPUTE_PGM_RSRC3_GFX90A:TG_SPLIT: 0
	.section	.text._Z20warp_exchange_kernelILj256ELj1ELj16EN6common25StripedToBlockedShuffleOpEiEvPT3_j,"axG",@progbits,_Z20warp_exchange_kernelILj256ELj1ELj16EN6common25StripedToBlockedShuffleOpEiEvPT3_j,comdat
	.protected	_Z20warp_exchange_kernelILj256ELj1ELj16EN6common25StripedToBlockedShuffleOpEiEvPT3_j ; -- Begin function _Z20warp_exchange_kernelILj256ELj1ELj16EN6common25StripedToBlockedShuffleOpEiEvPT3_j
	.globl	_Z20warp_exchange_kernelILj256ELj1ELj16EN6common25StripedToBlockedShuffleOpEiEvPT3_j
	.p2align	8
	.type	_Z20warp_exchange_kernelILj256ELj1ELj16EN6common25StripedToBlockedShuffleOpEiEvPT3_j,@function
_Z20warp_exchange_kernelILj256ELj1ELj16EN6common25StripedToBlockedShuffleOpEiEvPT3_j: ; @_Z20warp_exchange_kernelILj256ELj1ELj16EN6common25StripedToBlockedShuffleOpEiEvPT3_j
; %bb.0:
	s_load_dword s3, s[0:1], 0x8
	s_waitcnt lgkmcnt(0)
	s_cmp_eq_u32 s3, 0
	s_cbranch_scc1 .LBB21_3
; %bb.1:
	v_mbcnt_lo_u32_b32 v1, -1, 0
	v_mbcnt_hi_u32_b32 v1, -1, v1
	v_lshlrev_b32_e32 v2, 2, v1
	v_mov_b32_e32 v1, v0
.LBB21_2:                               ; =>This Inner Loop Header: Depth=1
	s_waitcnt lgkmcnt(0)
	ds_bpermute_b32 v1, v2, v1
	s_add_i32 s3, s3, -1
	s_cmp_lg_u32 s3, 0
	; wave barrier
	s_cbranch_scc1 .LBB21_2
	s_branch .LBB21_4
.LBB21_3:
	v_mov_b32_e32 v1, v0
.LBB21_4:
	s_load_dwordx2 s[0:1], s[0:1], 0x0
	v_lshl_or_b32 v2, s2, 8, v0
	v_mov_b32_e32 v3, 0
	s_waitcnt lgkmcnt(0)
	v_lshl_add_u64 v[2:3], v[2:3], 2, s[0:1]
	global_store_dword v[2:3], v1, off
	s_endpgm
	.section	.rodata,"a",@progbits
	.p2align	6, 0x0
	.amdhsa_kernel _Z20warp_exchange_kernelILj256ELj1ELj16EN6common25StripedToBlockedShuffleOpEiEvPT3_j
		.amdhsa_group_segment_fixed_size 0
		.amdhsa_private_segment_fixed_size 0
		.amdhsa_kernarg_size 12
		.amdhsa_user_sgpr_count 2
		.amdhsa_user_sgpr_dispatch_ptr 0
		.amdhsa_user_sgpr_queue_ptr 0
		.amdhsa_user_sgpr_kernarg_segment_ptr 1
		.amdhsa_user_sgpr_dispatch_id 0
		.amdhsa_user_sgpr_kernarg_preload_length 0
		.amdhsa_user_sgpr_kernarg_preload_offset 0
		.amdhsa_user_sgpr_private_segment_size 0
		.amdhsa_uses_dynamic_stack 0
		.amdhsa_enable_private_segment 0
		.amdhsa_system_sgpr_workgroup_id_x 1
		.amdhsa_system_sgpr_workgroup_id_y 0
		.amdhsa_system_sgpr_workgroup_id_z 0
		.amdhsa_system_sgpr_workgroup_info 0
		.amdhsa_system_vgpr_workitem_id 0
		.amdhsa_next_free_vgpr 4
		.amdhsa_next_free_sgpr 4
		.amdhsa_accum_offset 4
		.amdhsa_reserve_vcc 0
		.amdhsa_float_round_mode_32 0
		.amdhsa_float_round_mode_16_64 0
		.amdhsa_float_denorm_mode_32 3
		.amdhsa_float_denorm_mode_16_64 3
		.amdhsa_dx10_clamp 1
		.amdhsa_ieee_mode 1
		.amdhsa_fp16_overflow 0
		.amdhsa_tg_split 0
		.amdhsa_exception_fp_ieee_invalid_op 0
		.amdhsa_exception_fp_denorm_src 0
		.amdhsa_exception_fp_ieee_div_zero 0
		.amdhsa_exception_fp_ieee_overflow 0
		.amdhsa_exception_fp_ieee_underflow 0
		.amdhsa_exception_fp_ieee_inexact 0
		.amdhsa_exception_int_div_zero 0
	.end_amdhsa_kernel
	.section	.text._Z20warp_exchange_kernelILj256ELj1ELj16EN6common25StripedToBlockedShuffleOpEiEvPT3_j,"axG",@progbits,_Z20warp_exchange_kernelILj256ELj1ELj16EN6common25StripedToBlockedShuffleOpEiEvPT3_j,comdat
.Lfunc_end21:
	.size	_Z20warp_exchange_kernelILj256ELj1ELj16EN6common25StripedToBlockedShuffleOpEiEvPT3_j, .Lfunc_end21-_Z20warp_exchange_kernelILj256ELj1ELj16EN6common25StripedToBlockedShuffleOpEiEvPT3_j
                                        ; -- End function
	.section	.AMDGPU.csdata,"",@progbits
; Kernel info:
; codeLenInByte = 120
; NumSgprs: 10
; NumVgprs: 4
; NumAgprs: 0
; TotalNumVgprs: 4
; ScratchSize: 0
; MemoryBound: 0
; FloatMode: 240
; IeeeMode: 1
; LDSByteSize: 0 bytes/workgroup (compile time only)
; SGPRBlocks: 1
; VGPRBlocks: 0
; NumSGPRsForWavesPerEU: 10
; NumVGPRsForWavesPerEU: 4
; AccumOffset: 4
; Occupancy: 8
; WaveLimiterHint : 0
; COMPUTE_PGM_RSRC2:SCRATCH_EN: 0
; COMPUTE_PGM_RSRC2:USER_SGPR: 2
; COMPUTE_PGM_RSRC2:TRAP_HANDLER: 0
; COMPUTE_PGM_RSRC2:TGID_X_EN: 1
; COMPUTE_PGM_RSRC2:TGID_Y_EN: 0
; COMPUTE_PGM_RSRC2:TGID_Z_EN: 0
; COMPUTE_PGM_RSRC2:TIDIG_COMP_CNT: 0
; COMPUTE_PGM_RSRC3_GFX90A:ACCUM_OFFSET: 0
; COMPUTE_PGM_RSRC3_GFX90A:TG_SPLIT: 0
	.section	.text._Z20warp_exchange_kernelILj256ELj1ELj32EN6common25StripedToBlockedShuffleOpEiEvPT3_j,"axG",@progbits,_Z20warp_exchange_kernelILj256ELj1ELj32EN6common25StripedToBlockedShuffleOpEiEvPT3_j,comdat
	.protected	_Z20warp_exchange_kernelILj256ELj1ELj32EN6common25StripedToBlockedShuffleOpEiEvPT3_j ; -- Begin function _Z20warp_exchange_kernelILj256ELj1ELj32EN6common25StripedToBlockedShuffleOpEiEvPT3_j
	.globl	_Z20warp_exchange_kernelILj256ELj1ELj32EN6common25StripedToBlockedShuffleOpEiEvPT3_j
	.p2align	8
	.type	_Z20warp_exchange_kernelILj256ELj1ELj32EN6common25StripedToBlockedShuffleOpEiEvPT3_j,@function
_Z20warp_exchange_kernelILj256ELj1ELj32EN6common25StripedToBlockedShuffleOpEiEvPT3_j: ; @_Z20warp_exchange_kernelILj256ELj1ELj32EN6common25StripedToBlockedShuffleOpEiEvPT3_j
; %bb.0:
	s_load_dword s3, s[0:1], 0x8
	s_waitcnt lgkmcnt(0)
	s_cmp_eq_u32 s3, 0
	s_cbranch_scc1 .LBB22_3
; %bb.1:
	v_mbcnt_lo_u32_b32 v1, -1, 0
	v_mbcnt_hi_u32_b32 v1, -1, v1
	v_lshlrev_b32_e32 v2, 2, v1
	v_mov_b32_e32 v1, v0
.LBB22_2:                               ; =>This Inner Loop Header: Depth=1
	s_waitcnt lgkmcnt(0)
	ds_bpermute_b32 v1, v2, v1
	s_add_i32 s3, s3, -1
	s_cmp_lg_u32 s3, 0
	; wave barrier
	s_cbranch_scc1 .LBB22_2
	s_branch .LBB22_4
.LBB22_3:
	v_mov_b32_e32 v1, v0
.LBB22_4:
	s_load_dwordx2 s[0:1], s[0:1], 0x0
	v_lshl_or_b32 v2, s2, 8, v0
	v_mov_b32_e32 v3, 0
	s_waitcnt lgkmcnt(0)
	v_lshl_add_u64 v[2:3], v[2:3], 2, s[0:1]
	global_store_dword v[2:3], v1, off
	s_endpgm
	.section	.rodata,"a",@progbits
	.p2align	6, 0x0
	.amdhsa_kernel _Z20warp_exchange_kernelILj256ELj1ELj32EN6common25StripedToBlockedShuffleOpEiEvPT3_j
		.amdhsa_group_segment_fixed_size 0
		.amdhsa_private_segment_fixed_size 0
		.amdhsa_kernarg_size 12
		.amdhsa_user_sgpr_count 2
		.amdhsa_user_sgpr_dispatch_ptr 0
		.amdhsa_user_sgpr_queue_ptr 0
		.amdhsa_user_sgpr_kernarg_segment_ptr 1
		.amdhsa_user_sgpr_dispatch_id 0
		.amdhsa_user_sgpr_kernarg_preload_length 0
		.amdhsa_user_sgpr_kernarg_preload_offset 0
		.amdhsa_user_sgpr_private_segment_size 0
		.amdhsa_uses_dynamic_stack 0
		.amdhsa_enable_private_segment 0
		.amdhsa_system_sgpr_workgroup_id_x 1
		.amdhsa_system_sgpr_workgroup_id_y 0
		.amdhsa_system_sgpr_workgroup_id_z 0
		.amdhsa_system_sgpr_workgroup_info 0
		.amdhsa_system_vgpr_workitem_id 0
		.amdhsa_next_free_vgpr 4
		.amdhsa_next_free_sgpr 4
		.amdhsa_accum_offset 4
		.amdhsa_reserve_vcc 0
		.amdhsa_float_round_mode_32 0
		.amdhsa_float_round_mode_16_64 0
		.amdhsa_float_denorm_mode_32 3
		.amdhsa_float_denorm_mode_16_64 3
		.amdhsa_dx10_clamp 1
		.amdhsa_ieee_mode 1
		.amdhsa_fp16_overflow 0
		.amdhsa_tg_split 0
		.amdhsa_exception_fp_ieee_invalid_op 0
		.amdhsa_exception_fp_denorm_src 0
		.amdhsa_exception_fp_ieee_div_zero 0
		.amdhsa_exception_fp_ieee_overflow 0
		.amdhsa_exception_fp_ieee_underflow 0
		.amdhsa_exception_fp_ieee_inexact 0
		.amdhsa_exception_int_div_zero 0
	.end_amdhsa_kernel
	.section	.text._Z20warp_exchange_kernelILj256ELj1ELj32EN6common25StripedToBlockedShuffleOpEiEvPT3_j,"axG",@progbits,_Z20warp_exchange_kernelILj256ELj1ELj32EN6common25StripedToBlockedShuffleOpEiEvPT3_j,comdat
.Lfunc_end22:
	.size	_Z20warp_exchange_kernelILj256ELj1ELj32EN6common25StripedToBlockedShuffleOpEiEvPT3_j, .Lfunc_end22-_Z20warp_exchange_kernelILj256ELj1ELj32EN6common25StripedToBlockedShuffleOpEiEvPT3_j
                                        ; -- End function
	.section	.AMDGPU.csdata,"",@progbits
; Kernel info:
; codeLenInByte = 120
; NumSgprs: 10
; NumVgprs: 4
; NumAgprs: 0
; TotalNumVgprs: 4
; ScratchSize: 0
; MemoryBound: 0
; FloatMode: 240
; IeeeMode: 1
; LDSByteSize: 0 bytes/workgroup (compile time only)
; SGPRBlocks: 1
; VGPRBlocks: 0
; NumSGPRsForWavesPerEU: 10
; NumVGPRsForWavesPerEU: 4
; AccumOffset: 4
; Occupancy: 8
; WaveLimiterHint : 0
; COMPUTE_PGM_RSRC2:SCRATCH_EN: 0
; COMPUTE_PGM_RSRC2:USER_SGPR: 2
; COMPUTE_PGM_RSRC2:TRAP_HANDLER: 0
; COMPUTE_PGM_RSRC2:TGID_X_EN: 1
; COMPUTE_PGM_RSRC2:TGID_Y_EN: 0
; COMPUTE_PGM_RSRC2:TGID_Z_EN: 0
; COMPUTE_PGM_RSRC2:TIDIG_COMP_CNT: 0
; COMPUTE_PGM_RSRC3_GFX90A:ACCUM_OFFSET: 0
; COMPUTE_PGM_RSRC3_GFX90A:TG_SPLIT: 0
	.section	.text._Z20warp_exchange_kernelILj256ELj4ELj16EN6common25StripedToBlockedShuffleOpEiEvPT3_j,"axG",@progbits,_Z20warp_exchange_kernelILj256ELj4ELj16EN6common25StripedToBlockedShuffleOpEiEvPT3_j,comdat
	.protected	_Z20warp_exchange_kernelILj256ELj4ELj16EN6common25StripedToBlockedShuffleOpEiEvPT3_j ; -- Begin function _Z20warp_exchange_kernelILj256ELj4ELj16EN6common25StripedToBlockedShuffleOpEiEvPT3_j
	.globl	_Z20warp_exchange_kernelILj256ELj4ELj16EN6common25StripedToBlockedShuffleOpEiEvPT3_j
	.p2align	8
	.type	_Z20warp_exchange_kernelILj256ELj4ELj16EN6common25StripedToBlockedShuffleOpEiEvPT3_j,@function
_Z20warp_exchange_kernelILj256ELj4ELj16EN6common25StripedToBlockedShuffleOpEiEvPT3_j: ; @_Z20warp_exchange_kernelILj256ELj4ELj16EN6common25StripedToBlockedShuffleOpEiEvPT3_j
; %bb.0:
	s_load_dword s3, s[0:1], 0x8
	v_lshlrev_b32_e32 v0, 2, v0
	v_or_b32_e32 v1, 1, v0
	v_or_b32_e32 v2, 2, v0
	;; [unrolled: 1-line block ×3, first 2 shown]
	s_waitcnt lgkmcnt(0)
	s_cmp_eq_u32 s3, 0
	s_cbranch_scc1 .LBB23_4
; %bb.1:
	v_mbcnt_lo_u32_b32 v4, -1, 0
	v_mbcnt_hi_u32_b32 v9, -1, v4
	v_and_b32_e32 v4, 0x70, v9
	v_add_u32_e32 v5, 12, v9
	v_add_u32_e32 v7, 4, v9
	v_and_or_b32 v5, v5, 15, v4
	v_and_or_b32 v4, v7, 15, v4
	v_lshlrev_b32_e32 v7, 2, v4
	v_bfe_u32 v4, v9, 2, 2
	v_xor_b32_e32 v10, 2, v4
	v_add_u32_e32 v11, -1, v10
	v_and_b32_e32 v12, 3, v11
	v_and_b32_e32 v11, 3, v9
	v_lshlrev_b32_e32 v6, 2, v9
	v_lshrrev_b32_e32 v8, 2, v9
	v_add_u32_e32 v9, -1, v9
	v_xor_b32_e32 v16, 2, v11
	v_add_u32_e32 v8, -1, v8
	v_and_b32_e32 v14, 3, v9
	v_add_u32_e32 v9, -1, v16
	v_and_b32_e32 v8, 3, v8
	v_and_b32_e32 v18, 3, v9
	v_lshlrev_b32_e32 v5, 2, v5
	v_xor_b32_e32 v6, 32, v6
	v_cmp_eq_u32_e32 vcc, 1, v4
	v_cmp_eq_u32_e64 s[56:57], 2, v4
	v_cmp_eq_u32_e64 s[4:5], 3, v4
	;; [unrolled: 1-line block ×26, first 2 shown]
	v_mov_b32_e32 v4, v0
.LBB23_2:                               ; =>This Inner Loop Header: Depth=1
	ds_bpermute_b32 v8, v5, v1
	ds_bpermute_b32 v9, v6, v2
	;; [unrolled: 1-line block ×3, first 2 shown]
	v_cndmask_b32_e32 v1, v1, v4, vcc
	v_cndmask_b32_e64 v2, v2, v4, s[56:57]
	s_waitcnt lgkmcnt(2)
	v_cndmask_b32_e64 v1, v1, v8, s[10:11]
	v_cndmask_b32_e64 v3, v3, v4, s[4:5]
	v_cndmask_b32_e64 v2, v2, v8, s[8:9]
	s_waitcnt lgkmcnt(1)
	v_cndmask_b32_e64 v1, v1, v9, s[14:15]
	v_cndmask_b32_e64 v3, v3, v8, s[6:7]
	;; [unrolled: 4-line block ×3, first 2 shown]
	v_cndmask_b32_e64 v2, v2, v10, s[24:25]
	ds_bpermute_b32 v1, v7, v1
	v_cndmask_b32_e64 v3, v3, v10, s[22:23]
	ds_bpermute_b32 v2, v6, v2
	ds_bpermute_b32 v3, v5, v3
	v_cndmask_b32_e64 v4, v4, v8, s[12:13]
	v_cndmask_b32_e64 v4, v4, v9, s[20:21]
	;; [unrolled: 1-line block ×3, first 2 shown]
	s_waitcnt lgkmcnt(2)
	v_mov_b32_dpp v1, v1 quad_perm:[3,0,1,2] row_mask:0xf bank_mask:0xf
	s_waitcnt lgkmcnt(1)
	v_mov_b32_dpp v2, v2 quad_perm:[2,3,0,1] row_mask:0xf bank_mask:0xf
	v_cndmask_b32_e64 v8, v4, v1, s[30:31]
	v_cndmask_b32_e64 v9, v4, v1, s[34:35]
	v_cndmask_b32_e64 v10, v4, v1, s[36:37]
	v_cndmask_b32_e64 v1, v4, v1, s[38:39]
	s_waitcnt lgkmcnt(0)
	v_mov_b32_dpp v3, v3 quad_perm:[1,2,3,0] row_mask:0xf bank_mask:0xf
	v_cndmask_b32_e64 v1, v1, v2, s[40:41]
	v_cndmask_b32_e64 v10, v10, v2, s[42:43]
	;; [unrolled: 1-line block ×8, first 2 shown]
	s_add_i32 s3, s3, -1
	v_mov_b32_dpp v2, v2 quad_perm:[2,3,0,1] row_mask:0xf bank_mask:0xf
	v_mov_b32_dpp v1, v1 quad_perm:[1,2,3,0] row_mask:0xf bank_mask:0xf
	;; [unrolled: 1-line block ×3, first 2 shown]
	s_cmp_lg_u32 s3, 0
	; wave barrier
	s_cbranch_scc1 .LBB23_2
; %bb.3:
	v_mov_b32_e32 v5, v1
	v_mov_b32_e32 v6, v2
	;; [unrolled: 1-line block ×3, first 2 shown]
	s_branch .LBB23_5
.LBB23_4:
	v_mov_b64_e32 v[6:7], v[2:3]
	v_mov_b64_e32 v[4:5], v[0:1]
.LBB23_5:
	s_load_dwordx2 s[0:1], s[0:1], 0x0
	v_lshl_or_b32 v0, s2, 10, v0
	v_mov_b32_e32 v1, 0
	s_waitcnt lgkmcnt(0)
	v_lshl_add_u64 v[0:1], v[0:1], 2, s[0:1]
	global_store_dwordx4 v[0:1], v[4:7], off
	s_endpgm
	.section	.rodata,"a",@progbits
	.p2align	6, 0x0
	.amdhsa_kernel _Z20warp_exchange_kernelILj256ELj4ELj16EN6common25StripedToBlockedShuffleOpEiEvPT3_j
		.amdhsa_group_segment_fixed_size 0
		.amdhsa_private_segment_fixed_size 0
		.amdhsa_kernarg_size 12
		.amdhsa_user_sgpr_count 2
		.amdhsa_user_sgpr_dispatch_ptr 0
		.amdhsa_user_sgpr_queue_ptr 0
		.amdhsa_user_sgpr_kernarg_segment_ptr 1
		.amdhsa_user_sgpr_dispatch_id 0
		.amdhsa_user_sgpr_kernarg_preload_length 0
		.amdhsa_user_sgpr_kernarg_preload_offset 0
		.amdhsa_user_sgpr_private_segment_size 0
		.amdhsa_uses_dynamic_stack 0
		.amdhsa_enable_private_segment 0
		.amdhsa_system_sgpr_workgroup_id_x 1
		.amdhsa_system_sgpr_workgroup_id_y 0
		.amdhsa_system_sgpr_workgroup_id_z 0
		.amdhsa_system_sgpr_workgroup_info 0
		.amdhsa_system_vgpr_workitem_id 0
		.amdhsa_next_free_vgpr 19
		.amdhsa_next_free_sgpr 58
		.amdhsa_accum_offset 20
		.amdhsa_reserve_vcc 1
		.amdhsa_float_round_mode_32 0
		.amdhsa_float_round_mode_16_64 0
		.amdhsa_float_denorm_mode_32 3
		.amdhsa_float_denorm_mode_16_64 3
		.amdhsa_dx10_clamp 1
		.amdhsa_ieee_mode 1
		.amdhsa_fp16_overflow 0
		.amdhsa_tg_split 0
		.amdhsa_exception_fp_ieee_invalid_op 0
		.amdhsa_exception_fp_denorm_src 0
		.amdhsa_exception_fp_ieee_div_zero 0
		.amdhsa_exception_fp_ieee_overflow 0
		.amdhsa_exception_fp_ieee_underflow 0
		.amdhsa_exception_fp_ieee_inexact 0
		.amdhsa_exception_int_div_zero 0
	.end_amdhsa_kernel
	.section	.text._Z20warp_exchange_kernelILj256ELj4ELj16EN6common25StripedToBlockedShuffleOpEiEvPT3_j,"axG",@progbits,_Z20warp_exchange_kernelILj256ELj4ELj16EN6common25StripedToBlockedShuffleOpEiEvPT3_j,comdat
.Lfunc_end23:
	.size	_Z20warp_exchange_kernelILj256ELj4ELj16EN6common25StripedToBlockedShuffleOpEiEvPT3_j, .Lfunc_end23-_Z20warp_exchange_kernelILj256ELj4ELj16EN6common25StripedToBlockedShuffleOpEiEvPT3_j
                                        ; -- End function
	.section	.AMDGPU.csdata,"",@progbits
; Kernel info:
; codeLenInByte = 784
; NumSgprs: 64
; NumVgprs: 19
; NumAgprs: 0
; TotalNumVgprs: 19
; ScratchSize: 0
; MemoryBound: 0
; FloatMode: 240
; IeeeMode: 1
; LDSByteSize: 0 bytes/workgroup (compile time only)
; SGPRBlocks: 7
; VGPRBlocks: 2
; NumSGPRsForWavesPerEU: 64
; NumVGPRsForWavesPerEU: 19
; AccumOffset: 20
; Occupancy: 8
; WaveLimiterHint : 0
; COMPUTE_PGM_RSRC2:SCRATCH_EN: 0
; COMPUTE_PGM_RSRC2:USER_SGPR: 2
; COMPUTE_PGM_RSRC2:TRAP_HANDLER: 0
; COMPUTE_PGM_RSRC2:TGID_X_EN: 1
; COMPUTE_PGM_RSRC2:TGID_Y_EN: 0
; COMPUTE_PGM_RSRC2:TGID_Z_EN: 0
; COMPUTE_PGM_RSRC2:TIDIG_COMP_CNT: 0
; COMPUTE_PGM_RSRC3_GFX90A:ACCUM_OFFSET: 4
; COMPUTE_PGM_RSRC3_GFX90A:TG_SPLIT: 0
	.section	.text._Z20warp_exchange_kernelILj256ELj4ELj32EN6common25StripedToBlockedShuffleOpEiEvPT3_j,"axG",@progbits,_Z20warp_exchange_kernelILj256ELj4ELj32EN6common25StripedToBlockedShuffleOpEiEvPT3_j,comdat
	.protected	_Z20warp_exchange_kernelILj256ELj4ELj32EN6common25StripedToBlockedShuffleOpEiEvPT3_j ; -- Begin function _Z20warp_exchange_kernelILj256ELj4ELj32EN6common25StripedToBlockedShuffleOpEiEvPT3_j
	.globl	_Z20warp_exchange_kernelILj256ELj4ELj32EN6common25StripedToBlockedShuffleOpEiEvPT3_j
	.p2align	8
	.type	_Z20warp_exchange_kernelILj256ELj4ELj32EN6common25StripedToBlockedShuffleOpEiEvPT3_j,@function
_Z20warp_exchange_kernelILj256ELj4ELj32EN6common25StripedToBlockedShuffleOpEiEvPT3_j: ; @_Z20warp_exchange_kernelILj256ELj4ELj32EN6common25StripedToBlockedShuffleOpEiEvPT3_j
; %bb.0:
	s_load_dword s3, s[0:1], 0x8
	v_lshlrev_b32_e32 v0, 2, v0
	v_or_b32_e32 v1, 1, v0
	v_or_b32_e32 v2, 2, v0
	;; [unrolled: 1-line block ×3, first 2 shown]
	s_waitcnt lgkmcnt(0)
	s_cmp_eq_u32 s3, 0
	s_cbranch_scc1 .LBB24_4
; %bb.1:
	v_mbcnt_lo_u32_b32 v4, -1, 0
	v_mbcnt_hi_u32_b32 v4, -1, v4
	v_lshlrev_b32_e32 v5, 2, v4
	v_and_b32_e32 v6, 0x60, v4
	v_and_or_b32 v5, v5, 28, v6
	v_bfe_u32 v4, v4, 3, 2
	v_lshlrev_b32_e32 v5, 2, v5
	v_cmp_eq_u32_e32 vcc, 3, v4
	v_cmp_eq_u32_e64 s[6:7], 2, v4
	v_cmp_eq_u32_e64 s[4:5], 1, v4
	v_or_b32_e32 v6, 4, v5
	v_or_b32_e32 v7, 8, v5
	;; [unrolled: 1-line block ×3, first 2 shown]
	v_mov_b32_e32 v4, v0
.LBB24_2:                               ; =>This Inner Loop Header: Depth=1
	v_mov_b32_e32 v9, v1
	v_mov_b32_e32 v10, v4
	ds_bpermute_b32 v1, v5, v4
	ds_bpermute_b32 v4, v5, v9
	;; [unrolled: 1-line block ×6, first 2 shown]
	s_waitcnt lgkmcnt(4)
	v_cndmask_b32_e64 v1, v1, v4, s[4:5]
	s_waitcnt lgkmcnt(3)
	v_cndmask_b32_e64 v1, v1, v11, s[6:7]
	ds_bpermute_b32 v4, v5, v3
	ds_bpermute_b32 v11, v6, v10
	;; [unrolled: 1-line block ×5, first 2 shown]
	s_waitcnt lgkmcnt(4)
	v_cndmask_b32_e32 v4, v1, v4, vcc
	s_waitcnt lgkmcnt(3)
	v_cndmask_b32_e64 v1, v11, v12, s[4:5]
	v_cndmask_b32_e64 v1, v1, v13, s[6:7]
	ds_bpermute_b32 v9, v8, v9
	v_cndmask_b32_e32 v1, v1, v14, vcc
	ds_bpermute_b32 v12, v7, v2
	ds_bpermute_b32 v14, v8, v2
	;; [unrolled: 1-line block ×4, first 2 shown]
	s_waitcnt lgkmcnt(6)
	v_cndmask_b32_e64 v11, v15, v16, s[4:5]
	s_waitcnt lgkmcnt(4)
	v_cndmask_b32_e64 v9, v10, v9, s[4:5]
	;; [unrolled: 2-line block ×4, first 2 shown]
	s_add_i32 s3, s3, -1
	s_waitcnt lgkmcnt(1)
	v_cndmask_b32_e32 v2, v2, v13, vcc
	s_waitcnt lgkmcnt(0)
	v_cndmask_b32_e32 v3, v9, v3, vcc
	s_cmp_lg_u32 s3, 0
	; wave barrier
	s_cbranch_scc1 .LBB24_2
; %bb.3:
	v_mov_b32_e32 v5, v1
	v_mov_b32_e32 v6, v2
	;; [unrolled: 1-line block ×3, first 2 shown]
	s_branch .LBB24_5
.LBB24_4:
	v_mov_b64_e32 v[6:7], v[2:3]
	v_mov_b64_e32 v[4:5], v[0:1]
.LBB24_5:
	s_load_dwordx2 s[0:1], s[0:1], 0x0
	v_lshl_or_b32 v0, s2, 10, v0
	v_mov_b32_e32 v1, 0
	s_waitcnt lgkmcnt(0)
	v_lshl_add_u64 v[0:1], v[0:1], 2, s[0:1]
	global_store_dwordx4 v[0:1], v[4:7], off
	s_endpgm
	.section	.rodata,"a",@progbits
	.p2align	6, 0x0
	.amdhsa_kernel _Z20warp_exchange_kernelILj256ELj4ELj32EN6common25StripedToBlockedShuffleOpEiEvPT3_j
		.amdhsa_group_segment_fixed_size 0
		.amdhsa_private_segment_fixed_size 0
		.amdhsa_kernarg_size 12
		.amdhsa_user_sgpr_count 2
		.amdhsa_user_sgpr_dispatch_ptr 0
		.amdhsa_user_sgpr_queue_ptr 0
		.amdhsa_user_sgpr_kernarg_segment_ptr 1
		.amdhsa_user_sgpr_dispatch_id 0
		.amdhsa_user_sgpr_kernarg_preload_length 0
		.amdhsa_user_sgpr_kernarg_preload_offset 0
		.amdhsa_user_sgpr_private_segment_size 0
		.amdhsa_uses_dynamic_stack 0
		.amdhsa_enable_private_segment 0
		.amdhsa_system_sgpr_workgroup_id_x 1
		.amdhsa_system_sgpr_workgroup_id_y 0
		.amdhsa_system_sgpr_workgroup_id_z 0
		.amdhsa_system_sgpr_workgroup_info 0
		.amdhsa_system_vgpr_workitem_id 0
		.amdhsa_next_free_vgpr 17
		.amdhsa_next_free_sgpr 8
		.amdhsa_accum_offset 20
		.amdhsa_reserve_vcc 1
		.amdhsa_float_round_mode_32 0
		.amdhsa_float_round_mode_16_64 0
		.amdhsa_float_denorm_mode_32 3
		.amdhsa_float_denorm_mode_16_64 3
		.amdhsa_dx10_clamp 1
		.amdhsa_ieee_mode 1
		.amdhsa_fp16_overflow 0
		.amdhsa_tg_split 0
		.amdhsa_exception_fp_ieee_invalid_op 0
		.amdhsa_exception_fp_denorm_src 0
		.amdhsa_exception_fp_ieee_div_zero 0
		.amdhsa_exception_fp_ieee_overflow 0
		.amdhsa_exception_fp_ieee_underflow 0
		.amdhsa_exception_fp_ieee_inexact 0
		.amdhsa_exception_int_div_zero 0
	.end_amdhsa_kernel
	.section	.text._Z20warp_exchange_kernelILj256ELj4ELj32EN6common25StripedToBlockedShuffleOpEiEvPT3_j,"axG",@progbits,_Z20warp_exchange_kernelILj256ELj4ELj32EN6common25StripedToBlockedShuffleOpEiEvPT3_j,comdat
.Lfunc_end24:
	.size	_Z20warp_exchange_kernelILj256ELj4ELj32EN6common25StripedToBlockedShuffleOpEiEvPT3_j, .Lfunc_end24-_Z20warp_exchange_kernelILj256ELj4ELj32EN6common25StripedToBlockedShuffleOpEiEvPT3_j
                                        ; -- End function
	.section	.AMDGPU.csdata,"",@progbits
; Kernel info:
; codeLenInByte = 456
; NumSgprs: 14
; NumVgprs: 17
; NumAgprs: 0
; TotalNumVgprs: 17
; ScratchSize: 0
; MemoryBound: 0
; FloatMode: 240
; IeeeMode: 1
; LDSByteSize: 0 bytes/workgroup (compile time only)
; SGPRBlocks: 1
; VGPRBlocks: 2
; NumSGPRsForWavesPerEU: 14
; NumVGPRsForWavesPerEU: 17
; AccumOffset: 20
; Occupancy: 8
; WaveLimiterHint : 0
; COMPUTE_PGM_RSRC2:SCRATCH_EN: 0
; COMPUTE_PGM_RSRC2:USER_SGPR: 2
; COMPUTE_PGM_RSRC2:TRAP_HANDLER: 0
; COMPUTE_PGM_RSRC2:TGID_X_EN: 1
; COMPUTE_PGM_RSRC2:TGID_Y_EN: 0
; COMPUTE_PGM_RSRC2:TGID_Z_EN: 0
; COMPUTE_PGM_RSRC2:TIDIG_COMP_CNT: 0
; COMPUTE_PGM_RSRC3_GFX90A:ACCUM_OFFSET: 4
; COMPUTE_PGM_RSRC3_GFX90A:TG_SPLIT: 0
	.section	.text._Z20warp_exchange_kernelILj256ELj16ELj16EN6common25StripedToBlockedShuffleOpEiEvPT3_j,"axG",@progbits,_Z20warp_exchange_kernelILj256ELj16ELj16EN6common25StripedToBlockedShuffleOpEiEvPT3_j,comdat
	.protected	_Z20warp_exchange_kernelILj256ELj16ELj16EN6common25StripedToBlockedShuffleOpEiEvPT3_j ; -- Begin function _Z20warp_exchange_kernelILj256ELj16ELj16EN6common25StripedToBlockedShuffleOpEiEvPT3_j
	.globl	_Z20warp_exchange_kernelILj256ELj16ELj16EN6common25StripedToBlockedShuffleOpEiEvPT3_j
	.p2align	8
	.type	_Z20warp_exchange_kernelILj256ELj16ELj16EN6common25StripedToBlockedShuffleOpEiEvPT3_j,@function
_Z20warp_exchange_kernelILj256ELj16ELj16EN6common25StripedToBlockedShuffleOpEiEvPT3_j: ; @_Z20warp_exchange_kernelILj256ELj16ELj16EN6common25StripedToBlockedShuffleOpEiEvPT3_j
; %bb.0:
	s_load_dword s3, s[0:1], 0x8
	v_lshlrev_b32_e32 v16, 4, v0
	v_or_b32_e32 v1, 1, v16
	v_or_b32_e32 v3, 3, v16
	;; [unrolled: 1-line block ×14, first 2 shown]
	s_waitcnt lgkmcnt(0)
	s_cmp_eq_u32 s3, 0
	v_or_b32_e32 v10, 14, v16
	s_cbranch_scc1 .LBB25_3
; %bb.1:
	v_mbcnt_lo_u32_b32 v0, -1, 0
	v_mbcnt_hi_u32_b32 v0, -1, v0
	v_and_b32_e32 v18, 8, v0
	v_cmp_eq_u32_e32 vcc, 0, v18
	v_and_b32_e32 v26, 4, v0
	v_lshlrev_b32_e32 v17, 2, v18
	v_mov_b32_e32 v25, 0
	v_cndmask_b32_e64 v18, 4, 36, vcc
	v_cndmask_b32_e64 v19, 8, 40, vcc
	;; [unrolled: 1-line block ×7, first 2 shown]
	v_lshlrev_b32_e32 v27, 2, v26
	v_cmp_eq_u32_e32 vcc, 0, v26
	v_and_b32_e32 v34, 2, v0
	v_xad_u32 v17, v17, 32, v25
	v_xad_u32 v25, v27, 16, v25
	v_cndmask_b32_e64 v26, 4, 20, vcc
	v_cndmask_b32_e64 v27, 8, 24, vcc
	;; [unrolled: 1-line block ×7, first 2 shown]
	v_cmp_eq_u32_e32 vcc, 0, v34
	v_and_b32_e32 v0, 1, v0
	v_lshlrev_b32_e32 v33, 2, v34
	v_cndmask_b32_e64 v47, 4, 12, vcc
	v_cndmask_b32_e64 v34, 16, 24, vcc
	;; [unrolled: 1-line block ×7, first 2 shown]
	v_lshlrev_b32_e32 v40, 2, v0
	v_cmp_eq_u32_e32 vcc, 0, v0
	v_xor_b32_e32 v33, 8, v33
	v_xor_b32_e32 v40, 4, v40
	v_cndmask_b32_e64 v0, 8, 12, vcc
	v_or_b32_e32 v33, 0, v33
	v_or_b32_e32 v40, 0, v40
	v_cndmask_b32_e64 v41, 16, 20, vcc
	v_cndmask_b32_e64 v42, 24, 28, vcc
	;; [unrolled: 1-line block ×6, first 2 shown]
	v_or_b32_e32 v47, 0, v47
	v_or_b32_e32 v48, 0, v0
	v_mov_b32_e32 v0, v16
.LBB25_2:                               ; =>This Inner Loop Header: Depth=1
	scratch_store_dwordx4 off, v[0:3], off
	scratch_store_dwordx4 off, v[4:7], off offset:16
	s_waitcnt vmcnt(5)
	scratch_store_dwordx4 off, v[12:15], off offset:32
	scratch_load_dword v0, v17, off
	s_add_i32 s3, s3, -1
	s_waitcnt vmcnt(4)
	scratch_store_dwordx4 off, v[8:11], off offset:48
	s_cmp_lg_u32 s3, 0
	s_waitcnt vmcnt(1)
	ds_swizzle_b32 v0, v0 offset:swizzle(SWAP,8)
	s_waitcnt lgkmcnt(0)
	scratch_store_dword v17, v0, off
	scratch_load_dword v0, v18, off
	s_waitcnt vmcnt(0)
	ds_swizzle_b32 v0, v0 offset:swizzle(SWAP,8)
	s_waitcnt lgkmcnt(0)
	scratch_store_dword v18, v0, off
	scratch_load_dword v0, v19, off
	;; [unrolled: 5-line block ×5, first 2 shown]
	s_nop 0
	scratch_load_dword v1, v25, off
	s_waitcnt vmcnt(1)
	ds_swizzle_b32 v0, v0 offset:swizzle(SWAP,8)
	s_waitcnt vmcnt(0)
	ds_swizzle_b32 v1, v1 offset:swizzle(SWAP,4)
	s_waitcnt lgkmcnt(1)
	scratch_store_dword v22, v0, off
	s_waitcnt lgkmcnt(0)
	scratch_store_dword v25, v1, off
	scratch_load_dword v0, v23, off
	s_nop 0
	scratch_load_dword v1, v26, off
	s_waitcnt vmcnt(1)
	ds_swizzle_b32 v0, v0 offset:swizzle(SWAP,8)
	s_waitcnt vmcnt(0)
	ds_swizzle_b32 v1, v1 offset:swizzle(SWAP,4)
	s_waitcnt lgkmcnt(1)
	scratch_store_dword v23, v0, off
	s_waitcnt lgkmcnt(0)
	scratch_store_dword v26, v1, off
	scratch_load_dword v0, v24, off
	;; [unrolled: 11-line block ×3, first 2 shown]
	s_nop 0
	scratch_load_dword v1, v33, off
	scratch_load_dword v2, v29, off
	s_waitcnt vmcnt(2)
	ds_swizzle_b32 v0, v0 offset:swizzle(SWAP,4)
	s_waitcnt vmcnt(1)
	ds_swizzle_b32 v1, v1 offset:swizzle(SWAP,2)
	;; [unrolled: 2-line block ×3, first 2 shown]
	s_waitcnt lgkmcnt(2)
	scratch_store_dword v28, v0, off
	s_waitcnt lgkmcnt(1)
	scratch_store_dword v33, v1, off
	scratch_load_dword v0, v47, off
	s_waitcnt lgkmcnt(0)
	scratch_store_dword v29, v2, off
	scratch_load_dword v2, v34, off
	s_waitcnt vmcnt(2)
	ds_swizzle_b32 v0, v0 offset:swizzle(SWAP,2)
	scratch_load_dword v1, v30, off
	s_waitcnt vmcnt(1)
	ds_swizzle_b32 v2, v2 offset:swizzle(SWAP,2)
	s_waitcnt lgkmcnt(1)
	scratch_store_dword v47, v0, off
	scratch_load_dword v0, v40, off
	s_waitcnt vmcnt(2)
	ds_swizzle_b32 v1, v1 offset:swizzle(SWAP,4)
	s_waitcnt lgkmcnt(1)
	scratch_store_dword v34, v2, off
	s_waitcnt lgkmcnt(0)
	scratch_store_dword v30, v1, off
	scratch_load_dword v1, v31, off
	s_nop 0
	scratch_load_dword v2, v35, off
	scratch_load_dword v3, v48, off
	s_waitcnt vmcnt(5)
	ds_swizzle_b32 v0, v0 offset:swizzle(SWAP,1)
	s_waitcnt vmcnt(2)
	ds_swizzle_b32 v1, v1 offset:swizzle(SWAP,4)
	s_waitcnt lgkmcnt(0)
	scratch_store_dword v31, v1, off
	scratch_load_dword v4, v32, off
	scratch_load_dword v5, v36, off
	s_waitcnt vmcnt(3)
	ds_swizzle_b32 v1, v3 offset:swizzle(SWAP,1)
	scratch_store_dword v40, v0, off
	ds_swizzle_b32 v0, v2 offset:swizzle(SWAP,2)
	s_waitcnt lgkmcnt(0)
	scratch_store_dword v35, v0, off
	scratch_store_dword v48, v1, off
	scratch_load_dword v6, v41, off
	s_nop 0
	scratch_load_dwordx4 v[0:3], off, off
	s_waitcnt vmcnt(6)
	ds_swizzle_b32 v4, v4 offset:swizzle(SWAP,4)
	s_waitcnt vmcnt(5)
	ds_swizzle_b32 v5, v5 offset:swizzle(SWAP,2)
	s_waitcnt lgkmcnt(1)
	scratch_store_dword v32, v4, off
	s_waitcnt lgkmcnt(0)
	scratch_store_dword v36, v5, off
	scratch_load_dword v4, v38, off
	s_nop 0
	scratch_load_dword v5, v37, off
	scratch_load_dword v7, v42, off
	s_waitcnt vmcnt(2)
	ds_swizzle_b32 v4, v4 offset:swizzle(SWAP,2)
	s_waitcnt lgkmcnt(0)
	scratch_store_dword v38, v4, off
	scratch_load_dword v8, v39, off
	ds_swizzle_b32 v4, v6 offset:swizzle(SWAP,1)
	s_waitcnt lgkmcnt(0)
	scratch_store_dword v41, v4, off
	s_waitcnt vmcnt(4)
	ds_swizzle_b32 v4, v5 offset:swizzle(SWAP,2)
	s_waitcnt vmcnt(3)
	ds_swizzle_b32 v5, v7 offset:swizzle(SWAP,1)
	s_waitcnt lgkmcnt(1)
	scratch_store_dword v37, v4, off
	s_waitcnt lgkmcnt(0)
	scratch_store_dword v42, v5, off
	scratch_load_dword v9, v43, off
	scratch_load_dword v10, v44, off
	s_nop 0
	scratch_load_dwordx4 v[4:7], off, off offset:16
	s_waitcnt vmcnt(6)
	ds_swizzle_b32 v8, v8 offset:swizzle(SWAP,2)
	s_waitcnt lgkmcnt(0)
	scratch_store_dword v39, v8, off
	scratch_load_dword v8, v45, off
	s_nop 0
	scratch_load_dword v11, v46, off
	s_waitcnt vmcnt(5)
	ds_swizzle_b32 v9, v9 offset:swizzle(SWAP,1)
	s_waitcnt vmcnt(4)
	ds_swizzle_b32 v10, v10 offset:swizzle(SWAP,1)
	s_waitcnt lgkmcnt(1)
	scratch_store_dword v43, v9, off
	s_waitcnt lgkmcnt(0)
	scratch_store_dword v44, v10, off
	scratch_load_dwordx4 v[12:15], off, off offset:32
	s_waitcnt vmcnt(4)
	ds_swizzle_b32 v8, v8 offset:swizzle(SWAP,1)
	s_waitcnt vmcnt(3)
	ds_swizzle_b32 v9, v11 offset:swizzle(SWAP,1)
	s_waitcnt lgkmcnt(1)
	scratch_store_dword v45, v8, off
	s_waitcnt lgkmcnt(0)
	scratch_store_dword v46, v9, off
	scratch_load_dwordx4 v[8:11], off, off offset:48
	; wave barrier
	s_cbranch_scc1 .LBB25_2
	s_branch .LBB25_4
.LBB25_3:
	v_mov_b32_e32 v17, v1
	v_mov_b64_e32 v[0:1], v[16:17]
.LBB25_4:
	s_load_dwordx2 s[0:1], s[0:1], 0x0
	v_lshl_or_b32 v16, s2, 12, v16
	v_mov_b32_e32 v17, 0
	s_waitcnt lgkmcnt(0)
	v_lshl_add_u64 v[16:17], v[16:17], 2, s[0:1]
	global_store_dwordx4 v[16:17], v[0:3], off
	global_store_dwordx4 v[16:17], v[4:7], off offset:16
	s_waitcnt vmcnt(5)
	global_store_dwordx4 v[16:17], v[12:15], off offset:32
	s_waitcnt vmcnt(3)
	global_store_dwordx4 v[16:17], v[8:11], off offset:48
	s_endpgm
	.section	.rodata,"a",@progbits
	.p2align	6, 0x0
	.amdhsa_kernel _Z20warp_exchange_kernelILj256ELj16ELj16EN6common25StripedToBlockedShuffleOpEiEvPT3_j
		.amdhsa_group_segment_fixed_size 0
		.amdhsa_private_segment_fixed_size 80
		.amdhsa_kernarg_size 12
		.amdhsa_user_sgpr_count 2
		.amdhsa_user_sgpr_dispatch_ptr 0
		.amdhsa_user_sgpr_queue_ptr 0
		.amdhsa_user_sgpr_kernarg_segment_ptr 1
		.amdhsa_user_sgpr_dispatch_id 0
		.amdhsa_user_sgpr_kernarg_preload_length 0
		.amdhsa_user_sgpr_kernarg_preload_offset 0
		.amdhsa_user_sgpr_private_segment_size 0
		.amdhsa_uses_dynamic_stack 0
		.amdhsa_enable_private_segment 1
		.amdhsa_system_sgpr_workgroup_id_x 1
		.amdhsa_system_sgpr_workgroup_id_y 0
		.amdhsa_system_sgpr_workgroup_id_z 0
		.amdhsa_system_sgpr_workgroup_info 0
		.amdhsa_system_vgpr_workitem_id 0
		.amdhsa_next_free_vgpr 49
		.amdhsa_next_free_sgpr 4
		.amdhsa_accum_offset 52
		.amdhsa_reserve_vcc 1
		.amdhsa_float_round_mode_32 0
		.amdhsa_float_round_mode_16_64 0
		.amdhsa_float_denorm_mode_32 3
		.amdhsa_float_denorm_mode_16_64 3
		.amdhsa_dx10_clamp 1
		.amdhsa_ieee_mode 1
		.amdhsa_fp16_overflow 0
		.amdhsa_tg_split 0
		.amdhsa_exception_fp_ieee_invalid_op 0
		.amdhsa_exception_fp_denorm_src 0
		.amdhsa_exception_fp_ieee_div_zero 0
		.amdhsa_exception_fp_ieee_overflow 0
		.amdhsa_exception_fp_ieee_underflow 0
		.amdhsa_exception_fp_ieee_inexact 0
		.amdhsa_exception_int_div_zero 0
	.end_amdhsa_kernel
	.section	.text._Z20warp_exchange_kernelILj256ELj16ELj16EN6common25StripedToBlockedShuffleOpEiEvPT3_j,"axG",@progbits,_Z20warp_exchange_kernelILj256ELj16ELj16EN6common25StripedToBlockedShuffleOpEiEvPT3_j,comdat
.Lfunc_end25:
	.size	_Z20warp_exchange_kernelILj256ELj16ELj16EN6common25StripedToBlockedShuffleOpEiEvPT3_j, .Lfunc_end25-_Z20warp_exchange_kernelILj256ELj16ELj16EN6common25StripedToBlockedShuffleOpEiEvPT3_j
                                        ; -- End function
	.section	.AMDGPU.csdata,"",@progbits
; Kernel info:
; codeLenInByte = 1636
; NumSgprs: 10
; NumVgprs: 49
; NumAgprs: 0
; TotalNumVgprs: 49
; ScratchSize: 80
; MemoryBound: 0
; FloatMode: 240
; IeeeMode: 1
; LDSByteSize: 0 bytes/workgroup (compile time only)
; SGPRBlocks: 1
; VGPRBlocks: 6
; NumSGPRsForWavesPerEU: 10
; NumVGPRsForWavesPerEU: 49
; AccumOffset: 52
; Occupancy: 8
; WaveLimiterHint : 0
; COMPUTE_PGM_RSRC2:SCRATCH_EN: 1
; COMPUTE_PGM_RSRC2:USER_SGPR: 2
; COMPUTE_PGM_RSRC2:TRAP_HANDLER: 0
; COMPUTE_PGM_RSRC2:TGID_X_EN: 1
; COMPUTE_PGM_RSRC2:TGID_Y_EN: 0
; COMPUTE_PGM_RSRC2:TGID_Z_EN: 0
; COMPUTE_PGM_RSRC2:TIDIG_COMP_CNT: 0
; COMPUTE_PGM_RSRC3_GFX90A:ACCUM_OFFSET: 12
; COMPUTE_PGM_RSRC3_GFX90A:TG_SPLIT: 0
	.section	.text._Z20warp_exchange_kernelILj256ELj16ELj32EN6common25StripedToBlockedShuffleOpEiEvPT3_j,"axG",@progbits,_Z20warp_exchange_kernelILj256ELj16ELj32EN6common25StripedToBlockedShuffleOpEiEvPT3_j,comdat
	.protected	_Z20warp_exchange_kernelILj256ELj16ELj32EN6common25StripedToBlockedShuffleOpEiEvPT3_j ; -- Begin function _Z20warp_exchange_kernelILj256ELj16ELj32EN6common25StripedToBlockedShuffleOpEiEvPT3_j
	.globl	_Z20warp_exchange_kernelILj256ELj16ELj32EN6common25StripedToBlockedShuffleOpEiEvPT3_j
	.p2align	8
	.type	_Z20warp_exchange_kernelILj256ELj16ELj32EN6common25StripedToBlockedShuffleOpEiEvPT3_j,@function
_Z20warp_exchange_kernelILj256ELj16ELj32EN6common25StripedToBlockedShuffleOpEiEvPT3_j: ; @_Z20warp_exchange_kernelILj256ELj16ELj32EN6common25StripedToBlockedShuffleOpEiEvPT3_j
; %bb.0:
	s_load_dword s3, s[0:1], 0x8
	v_lshlrev_b32_e32 v16, 4, v0
	v_or_b32_e32 v17, 1, v16
	v_or_b32_e32 v18, 2, v16
	;; [unrolled: 1-line block ×14, first 2 shown]
	s_waitcnt lgkmcnt(0)
	s_cmp_lg_u32 s3, 0
	v_or_b32_e32 v25, 15, v16
	s_cbranch_scc0 .LBB26_6
; %bb.1:
	v_mbcnt_lo_u32_b32 v0, -1, 0
	v_mbcnt_hi_u32_b32 v0, -1, v0
	v_and_b32_e32 v1, 0x60, v0
	v_add_u32_e32 v2, 28, v0
	v_and_or_b32 v2, v2, 31, v1
	v_lshlrev_b32_e32 v32, 2, v2
	v_add_u32_e32 v2, 24, v0
	v_and_or_b32 v2, v2, 31, v1
	v_lshlrev_b32_e32 v33, 2, v2
	v_add_u32_e32 v2, 20, v0
	v_and_or_b32 v2, v2, 31, v1
	v_lshlrev_b32_e32 v34, 2, v2
	v_lshlrev_b32_e32 v2, 2, v0
	v_xor_b32_e32 v35, 64, v2
	v_add_u32_e32 v2, 12, v0
	v_and_or_b32 v2, v2, 31, v1
	v_lshlrev_b32_e32 v36, 2, v2
	v_add_u32_e32 v2, 8, v0
	v_and_or_b32 v2, v2, 31, v1
	v_lshlrev_b32_e32 v37, 2, v2
	;; [unrolled: 3-line block ×3, first 2 shown]
	v_bfe_u32 v1, v0, 2, 3
	v_add_u32_e32 v3, 7, v1
	v_and_b32_e32 v39, 7, v3
	v_or_b32_e32 v40, 8, v3
	v_add_u32_e32 v3, 6, v1
	v_and_b32_e32 v41, 7, v3
	v_or_b32_e32 v42, 8, v3
	v_add_u32_e32 v3, 5, v1
	v_xor_b32_e32 v45, 4, v1
	v_and_b32_e32 v53, 3, v0
	v_and_b32_e32 v43, 7, v3
	v_or_b32_e32 v44, 8, v3
	v_add_u32_e32 v3, 7, v45
	v_add_u32_e32 v0, -1, v0
	v_xor_b32_e32 v56, 2, v53
	v_and_b32_e32 v47, 7, v3
	v_or_b32_e32 v48, 8, v3
	v_add_u32_e32 v3, 6, v45
	v_and_b32_e32 v55, 3, v0
	v_add_u32_e32 v0, 3, v56
	v_or_b32_e32 v2, 8, v1
	v_and_b32_e32 v49, 7, v3
	v_or_b32_e32 v50, 8, v3
	v_add_u32_e32 v3, 5, v45
	v_and_b32_e32 v57, 3, v0
	v_or_b32_e32 v46, 8, v45
	v_and_b32_e32 v51, 7, v3
	v_or_b32_e32 v52, 8, v3
	v_or_b32_e32 v54, 4, v53
	;; [unrolled: 1-line block ×4, first 2 shown]
	v_cmp_eq_u32_e32 vcc, 1, v1
	v_cmp_eq_u32_e64 s[76:77], 2, v1
	v_cmp_eq_u32_e64 s[4:5], 3, v1
	;; [unrolled: 1-line block ×36, first 2 shown]
	v_mov_b32_e32 v3, v25
	v_mov_b32_e32 v2, v24
	;; [unrolled: 1-line block ×16, first 2 shown]
	v_or_b32_e32 v60, 8, v53
	v_or_b32_e32 v61, 12, v53
	;; [unrolled: 1-line block ×9, first 2 shown]
                                        ; implicit-def: $vgpr80
                                        ; implicit-def: $vgpr79
                                        ; implicit-def: $vgpr78
                                        ; implicit-def: $vgpr77
                                        ; implicit-def: $vgpr76
                                        ; implicit-def: $vgpr75
                                        ; implicit-def: $vgpr74
                                        ; implicit-def: $vgpr73
                                        ; implicit-def: $vgpr72
                                        ; implicit-def: $vgpr71
                                        ; implicit-def: $vgpr70
                                        ; implicit-def: $vgpr69
.LBB26_2:                               ; =>This Inner Loop Header: Depth=1
	ds_bpermute_b32 v81, v32, v14
	v_cndmask_b32_e64 v87, v10, v12, s[10:11]
	v_cndmask_b32_e64 v88, v11, v12, s[12:13]
	;; [unrolled: 1-line block ×3, first 2 shown]
	v_cmp_eq_u32_e64 s[78:79], 6, v39
	v_cndmask_b32_e64 v89, v5, v12, s[14:15]
	v_cndmask_b32_e64 v88, v88, v13, s[48:49]
	s_waitcnt lgkmcnt(0)
	v_cndmask_b32_e64 v87, v87, v81, s[78:79]
	v_cmp_eq_u32_e64 s[78:79], 7, v39
	v_cndmask_b32_e64 v90, v6, v12, s[16:17]
	v_cndmask_b32_e64 v89, v89, v13, s[46:47]
	v_cndmask_b32_e64 v88, v88, v81, s[78:79]
	v_cmp_eq_u32_e64 s[78:79], 9, v39
	v_cndmask_b32_e64 v91, v7, v12, s[18:19]
	v_cndmask_b32_e64 v90, v90, v13, s[44:45]
	;; [unrolled: 4-line block ×4, first 2 shown]
	v_cndmask_b32_e64 v91, v91, v81, s[78:79]
	v_cmp_eq_u32_e64 s[78:79], 12, v39
	ds_bpermute_b32 v82, v32, v15
	v_cndmask_b32_e64 v94, v2, v12, s[24:25]
	v_cndmask_b32_e64 v93, v93, v13, s[38:39]
	;; [unrolled: 1-line block ×3, first 2 shown]
	v_cmp_eq_u32_e64 s[78:79], 13, v39
	v_cndmask_b32_e64 v95, v3, v12, s[26:27]
	v_cndmask_b32_e64 v94, v94, v13, s[36:37]
	;; [unrolled: 1-line block ×3, first 2 shown]
	v_cmp_eq_u32_e64 s[78:79], 14, v39
	ds_bpermute_b32 v84, v33, v9
	v_cndmask_b32_e32 v85, v13, v12, vcc
	v_cndmask_b32_e64 v14, v14, v12, s[76:77]
	v_cndmask_b32_e64 v15, v15, v12, s[4:5]
	;; [unrolled: 1-line block ×7, first 2 shown]
	v_cmp_eq_u32_e64 s[78:79], 15, v39
	v_cndmask_b32_e64 v96, v96, v13, s[30:31]
	v_cndmask_b32_e64 v9, v9, v13, s[52:53]
	;; [unrolled: 1-line block ×8, first 2 shown]
	v_cmp_eq_u32_e64 s[78:79], 8, v39
	v_cndmask_b32_e64 v13, v13, v81, s[64:65]
	v_cndmask_b32_e64 v85, v85, v81, s[66:67]
	;; [unrolled: 1-line block ×7, first 2 shown]
	v_cmp_eq_u32_e64 s[78:79], 0, v40
	ds_bpermute_b32 v83, v33, v8
	ds_bpermute_b32 v10, v34, v10
	s_waitcnt lgkmcnt(3)
	v_cndmask_b32_e64 v13, v13, v82, s[78:79]
	v_cmp_eq_u32_e64 s[78:79], 8, v40
	ds_bpermute_b32 v11, v34, v11
	ds_bpermute_b32 v5, v35, v5
	v_cndmask_b32_e64 v81, v81, v82, s[78:79]
	v_cmp_eq_u32_e64 s[78:79], 15, v40
	ds_bpermute_b32 v6, v36, v6
	ds_bpermute_b32 v7, v36, v7
	;; [unrolled: 4-line block ×3, first 2 shown]
	v_cndmask_b32_e64 v94, v94, v82, s[78:79]
	v_cmp_eq_u32_e64 s[78:79], 13, v40
	ds_bpermute_b32 v3, v38, v3
	s_add_i32 s3, s3, -1
	v_cndmask_b32_e64 v93, v93, v82, s[78:79]
	v_cmp_eq_u32_e64 s[78:79], 12, v40
	s_cmp_lg_u32 s3, 0
	s_nop 0
	v_cndmask_b32_e64 v92, v92, v82, s[78:79]
	v_cmp_eq_u32_e64 s[78:79], 11, v40
	; wave barrier
	s_nop 1
	v_cndmask_b32_e64 v91, v91, v82, s[78:79]
	v_cmp_eq_u32_e64 s[78:79], 10, v40
	s_nop 1
	v_cndmask_b32_e64 v90, v90, v82, s[78:79]
	v_cmp_eq_u32_e64 s[78:79], 9, v40
	;; [unrolled: 3-line block ×10, first 2 shown]
	s_waitcnt lgkmcnt(8)
	s_nop 0
	v_cndmask_b32_e64 v13, v13, v83, s[78:79]
	v_cmp_eq_u32_e64 s[78:79], 1, v41
	s_nop 1
	v_cndmask_b32_e64 v82, v82, v83, s[78:79]
	v_cmp_eq_u32_e64 s[78:79], 2, v41
	;; [unrolled: 3-line block ×16, first 2 shown]
	ds_bpermute_b32 v83, v35, v4
	s_nop 0
	v_cndmask_b32_e64 v13, v13, v84, s[78:79]
	v_cmp_eq_u32_e64 s[78:79], 8, v42
	s_nop 1
	v_cndmask_b32_e64 v81, v81, v84, s[78:79]
	v_cmp_eq_u32_e64 s[78:79], 15, v42
	s_nop 1
	v_cndmask_b32_e64 v94, v94, v84, s[78:79]
	v_cmp_eq_u32_e64 s[78:79], 14, v42
	s_nop 1
	v_cndmask_b32_e64 v93, v93, v84, s[78:79]
	v_cmp_eq_u32_e64 s[78:79], 13, v42
	s_nop 1
	v_cndmask_b32_e64 v92, v92, v84, s[78:79]
	v_cmp_eq_u32_e64 s[78:79], 12, v42
	s_nop 1
	v_cndmask_b32_e64 v91, v91, v84, s[78:79]
	v_cmp_eq_u32_e64 s[78:79], 11, v42
	s_nop 1
	v_cndmask_b32_e64 v90, v90, v84, s[78:79]
	v_cmp_eq_u32_e64 s[78:79], 10, v42
	s_nop 1
	v_cndmask_b32_e64 v89, v89, v84, s[78:79]
	v_cmp_eq_u32_e64 s[78:79], 9, v42
	s_nop 1
	v_cndmask_b32_e64 v88, v88, v84, s[78:79]
	v_cmp_eq_u32_e64 s[78:79], 7, v42
	s_nop 1
	v_cndmask_b32_e64 v87, v87, v84, s[78:79]
	v_cmp_eq_u32_e64 s[78:79], 6, v42
	s_nop 1
	v_cndmask_b32_e64 v86, v86, v84, s[78:79]
	v_cmp_eq_u32_e64 s[78:79], 5, v42
	s_nop 1
	v_cndmask_b32_e64 v9, v9, v84, s[78:79]
	v_cmp_eq_u32_e64 s[78:79], 4, v42
	s_nop 1
	v_cndmask_b32_e64 v85, v85, v84, s[78:79]
	v_cmp_eq_u32_e64 s[78:79], 3, v42
	s_nop 1
	v_cndmask_b32_e64 v15, v15, v84, s[78:79]
	v_cmp_eq_u32_e64 s[78:79], 2, v42
	s_nop 1
	v_cndmask_b32_e64 v14, v14, v84, s[78:79]
	v_cmp_eq_u32_e64 s[78:79], 1, v42
	s_nop 1
	v_cndmask_b32_e64 v82, v82, v84, s[78:79]
	v_cmp_eq_u32_e64 s[78:79], 0, v43
	s_waitcnt lgkmcnt(8)
	s_nop 0
	v_cndmask_b32_e64 v13, v13, v10, s[78:79]
	v_cmp_eq_u32_e64 s[78:79], 1, v43
	s_nop 1
	v_cndmask_b32_e64 v82, v82, v10, s[78:79]
	v_cmp_eq_u32_e64 s[78:79], 2, v43
	s_nop 1
	v_cndmask_b32_e64 v14, v14, v10, s[78:79]
	v_cmp_eq_u32_e64 s[78:79], 3, v43
	s_nop 1
	v_cndmask_b32_e64 v15, v15, v10, s[78:79]
	v_cmp_eq_u32_e64 s[78:79], 4, v43
	s_nop 1
	v_cndmask_b32_e64 v84, v85, v10, s[78:79]
	v_cmp_eq_u32_e64 s[78:79], 5, v43
	s_nop 1
	v_cndmask_b32_e64 v9, v9, v10, s[78:79]
	v_cmp_eq_u32_e64 s[78:79], 6, v43
	s_nop 1
	v_cndmask_b32_e64 v85, v86, v10, s[78:79]
	v_cmp_eq_u32_e64 s[78:79], 7, v43
	s_nop 1
	v_cndmask_b32_e64 v86, v87, v10, s[78:79]
	v_cmp_eq_u32_e64 s[78:79], 9, v43
	s_nop 1
	v_cndmask_b32_e64 v87, v88, v10, s[78:79]
	v_cmp_eq_u32_e64 s[78:79], 10, v43
	s_nop 1
	v_cndmask_b32_e64 v88, v89, v10, s[78:79]
	v_cmp_eq_u32_e64 s[78:79], 11, v43
	s_nop 1
	v_cndmask_b32_e64 v89, v90, v10, s[78:79]
	v_cmp_eq_u32_e64 s[78:79], 12, v43
	s_nop 1
	v_cndmask_b32_e64 v90, v91, v10, s[78:79]
	v_cmp_eq_u32_e64 s[78:79], 13, v43
	s_nop 1
	v_cndmask_b32_e64 v91, v92, v10, s[78:79]
	v_cmp_eq_u32_e64 s[78:79], 14, v43
	s_nop 1
	v_cndmask_b32_e64 v92, v93, v10, s[78:79]
	v_cmp_eq_u32_e64 s[78:79], 15, v43
	s_nop 1
	v_cndmask_b32_e64 v93, v94, v10, s[78:79]
	v_cmp_eq_u32_e64 s[78:79], 8, v43
	s_nop 1
	v_cndmask_b32_e64 v10, v81, v10, s[78:79]
	v_cmp_eq_u32_e64 s[78:79], 0, v44
	s_waitcnt lgkmcnt(7)
	;; [unrolled: 49-line block ×3, first 2 shown]
	s_nop 0
	v_cndmask_b32_e64 v13, v13, v83, s[78:79]
	v_cmp_eq_u32_e64 s[78:79], 1, v45
	s_nop 1
	v_cndmask_b32_e64 v11, v11, v83, s[78:79]
	v_cmp_eq_u32_e64 s[78:79], 2, v45
	s_nop 1
	v_cndmask_b32_e64 v14, v14, v83, s[78:79]
	v_cmp_eq_u32_e64 s[78:79], 3, v45
	s_nop 1
	v_cndmask_b32_e64 v15, v15, v83, s[78:79]
	v_cmp_eq_u32_e64 s[78:79], 4, v45
	s_nop 1
	v_cndmask_b32_e64 v82, v84, v83, s[78:79]
	v_cmp_eq_u32_e64 s[78:79], 5, v45
	s_nop 1
	v_cndmask_b32_e64 v9, v9, v83, s[78:79]
	v_cmp_eq_u32_e64 s[78:79], 6, v45
	s_nop 1
	v_cndmask_b32_e64 v84, v85, v83, s[78:79]
	v_cmp_eq_u32_e64 s[78:79], 7, v45
	s_nop 1
	v_cndmask_b32_e64 v85, v86, v83, s[78:79]
	v_cmp_eq_u32_e64 s[78:79], 9, v45
	s_nop 1
	v_cndmask_b32_e64 v86, v87, v83, s[78:79]
	v_cmp_eq_u32_e64 s[78:79], 10, v45
	s_nop 1
	v_cndmask_b32_e64 v87, v88, v83, s[78:79]
	v_cmp_eq_u32_e64 s[78:79], 11, v45
	s_nop 1
	v_cndmask_b32_e64 v88, v89, v83, s[78:79]
	v_cmp_eq_u32_e64 s[78:79], 12, v45
	s_nop 1
	v_cndmask_b32_e64 v89, v90, v83, s[78:79]
	v_cmp_eq_u32_e64 s[78:79], 13, v45
	s_nop 1
	v_cndmask_b32_e64 v90, v91, v83, s[78:79]
	v_cmp_eq_u32_e64 s[78:79], 14, v45
	s_nop 1
	v_cndmask_b32_e64 v91, v92, v83, s[78:79]
	v_cmp_eq_u32_e64 s[78:79], 15, v45
	s_nop 1
	v_cndmask_b32_e64 v81, v81, v83, s[78:79]
	v_cmp_eq_u32_e64 s[78:79], 8, v45
	s_nop 1
	v_cndmask_b32_e64 v10, v10, v83, s[78:79]
	v_cmp_eq_u32_e64 s[78:79], 0, v46
	ds_bpermute_b32 v83, v37, v0
	s_nop 0
	v_cndmask_b32_e64 v13, v13, v5, s[78:79]
	v_cmp_eq_u32_e64 s[78:79], 8, v46
	s_nop 1
	v_cndmask_b32_e64 v10, v10, v5, s[78:79]
	v_cmp_eq_u32_e64 s[78:79], 15, v46
	;; [unrolled: 3-line block ×48, first 2 shown]
	s_waitcnt lgkmcnt(0)
	s_nop 0
	v_cndmask_b32_e64 v7, v10, v83, s[78:79]
	v_cmp_eq_u32_e64 s[78:79], 1, v49
	s_nop 1
	v_cndmask_b32_e64 v5, v5, v83, s[78:79]
	v_cmp_eq_u32_e64 s[78:79], 2, v49
	;; [unrolled: 3-line block ×50, first 2 shown]
	s_nop 0
	v_mov_b32_dpp v2, v2 quad_perm:[2,3,0,1] row_mask:0xf bank_mask:0xf
	v_cndmask_b32_e64 v6, v11, v3, s[78:79]
	v_cmp_eq_u32_e64 s[78:79], 14, v52
	ds_bpermute_b32 v6, v32, v6
	s_nop 0
	v_cndmask_b32_e64 v11, v81, v3, s[78:79]
	v_cmp_eq_u32_e64 s[78:79], 13, v52
	ds_bpermute_b32 v11, v33, v11
	s_nop 0
	v_cndmask_b32_e64 v81, v83, v3, s[78:79]
	v_cmp_eq_u32_e64 s[78:79], 12, v52
	ds_bpermute_b32 v81, v34, v81
	s_waitcnt lgkmcnt(1)
	v_mov_b32_dpp v11, v11 quad_perm:[1,2,3,0] row_mask:0xf bank_mask:0xf
	v_cndmask_b32_e64 v83, v86, v3, s[78:79]
	v_cmp_eq_u32_e64 s[78:79], 11, v52
	ds_bpermute_b32 v83, v35, v83
	s_waitcnt lgkmcnt(1)
	v_mov_b32_dpp v81, v81 quad_perm:[1,2,3,0] row_mask:0xf bank_mask:0xf
	v_cndmask_b32_e64 v85, v85, v3, s[78:79]
	v_cmp_eq_u32_e64 s[78:79], 10, v52
	s_waitcnt lgkmcnt(0)
	v_mov_b32_dpp v83, v83 quad_perm:[1,2,3,0] row_mask:0xf bank_mask:0xf
	v_cndmask_b32_e64 v84, v84, v3, s[78:79]
	v_cmp_eq_u32_e64 s[78:79], 9, v52
	s_nop 1
	v_cndmask_b32_e64 v82, v82, v3, s[78:79]
	v_cmp_eq_u32_e64 s[78:79], 7, v52
	s_nop 1
	;; [unrolled: 3-line block ×4, first 2 shown]
	v_cndmask_b32_e64 v9, v9, v3, s[78:79]
	v_cmp_eq_u32_e64 s[78:79], 4, v52
	ds_bpermute_b32 v9, v34, v9
	s_nop 0
	v_cndmask_b32_e64 v13, v13, v3, s[78:79]
	v_cmp_eq_u32_e64 s[78:79], 3, v52
	s_waitcnt lgkmcnt(0)
	v_mov_b32_dpp v9, v9 quad_perm:[3,0,1,2] row_mask:0xf bank_mask:0xf
	v_cndmask_b32_e64 v10, v10, v3, s[78:79]
	v_cmp_eq_u32_e64 s[78:79], 2, v52
	ds_bpermute_b32 v10, v36, v10
	s_nop 0
	v_cndmask_b32_e64 v7, v7, v3, s[78:79]
	v_cmp_eq_u32_e64 s[78:79], 1, v52
	ds_bpermute_b32 v7, v37, v7
	s_nop 0
	v_cndmask_b32_e64 v1, v1, v3, s[78:79]
	ds_bpermute_b32 v3, v38, v1
	ds_bpermute_b32 v1, v35, v13
	v_cmp_eq_u32_e64 s[78:79], 0, v53
	ds_bpermute_b32 v13, v33, v14
	ds_bpermute_b32 v14, v32, v15
	;; [unrolled: 1-line block ×5, first 2 shown]
	s_waitcnt lgkmcnt(5)
	v_mov_b32_dpp v85, v1 quad_perm:[3,0,1,2] row_mask:0xf bank_mask:0xf
	v_mov_b32_dpp v1, v6 quad_perm:[1,2,3,0] row_mask:0xf bank_mask:0xf
	v_cndmask_b32_e64 v6, v12, v5, s[78:79]
	v_cmp_eq_u32_e64 s[78:79], 1, v53
	s_waitcnt lgkmcnt(4)
	v_mov_b32_dpp v13, v13 quad_perm:[3,0,1,2] row_mask:0xf bank_mask:0xf
	s_waitcnt lgkmcnt(3)
	v_mov_b32_dpp v14, v14 quad_perm:[3,0,1,2] row_mask:0xf bank_mask:0xf
	v_cndmask_b32_e64 v12, v80, v5, s[78:79]
	v_cmp_eq_u32_e64 s[78:79], 2, v53
	s_waitcnt lgkmcnt(2)
	v_mov_b32_dpp v15, v15 quad_perm:[2,3,0,1] row_mask:0xf bank_mask:0xf
	s_waitcnt lgkmcnt(1)
	v_mov_b32_dpp v82, v82 quad_perm:[2,3,0,1] row_mask:0xf bank_mask:0xf
	v_cndmask_b32_e64 v79, v79, v5, s[78:79]
	v_cmp_eq_u32_e64 s[78:79], 3, v53
	s_waitcnt lgkmcnt(0)
	v_mov_b32_dpp v84, v84 quad_perm:[2,3,0,1] row_mask:0xf bank_mask:0xf
	v_cndmask_b32_e64 v78, v78, v5, s[78:79]
	v_cmp_eq_u32_e64 s[78:79], 4, v53
	s_nop 1
	v_cndmask_b32_e64 v8, v8, v5, s[78:79]
	v_cmp_eq_u32_e64 s[78:79], 5, v53
	s_nop 1
	;; [unrolled: 3-line block ×239, first 2 shown]
	v_mov_b32_dpp v2, v70 quad_perm:[2,3,0,1] row_mask:0xf bank_mask:0xf
	v_cndmask_b32_e64 v71, v7, v1, s[78:79]
	v_cmp_eq_u32_e64 s[78:79], 12, v59
	s_nop 1
	v_cndmask_b32_e64 v0, v0, v1, s[78:79]
	v_cmp_eq_u32_e64 s[78:79], 11, v59
	s_nop 1
	v_cndmask_b32_e64 v72, v13, v1, s[78:79]
	v_cmp_eq_u32_e64 s[78:79], 10, v59
	s_nop 0
	v_mov_b32_dpp v7, v72 quad_perm:[3,0,1,2] row_mask:0xf bank_mask:0xf
	v_cndmask_b32_e64 v73, v73, v1, s[78:79]
	v_cmp_eq_u32_e64 s[78:79], 9, v59
	s_nop 1
	v_cndmask_b32_e64 v74, v74, v1, s[78:79]
	v_cmp_eq_u32_e64 s[78:79], 8, v59
	s_nop 0
	v_mov_b32_dpp v5, v74 quad_perm:[1,2,3,0] row_mask:0xf bank_mask:0xf
	v_cndmask_b32_e64 v4, v4, v1, s[78:79]
	v_cmp_eq_u32_e64 s[78:79], 7, v59
	s_nop 1
	v_cndmask_b32_e64 v75, v15, v1, s[78:79]
	v_cmp_eq_u32_e64 s[78:79], 6, v59
	s_nop 0
	;; [unrolled: 7-line block ×3, first 2 shown]
	v_cndmask_b32_e64 v8, v8, v1, s[78:79]
	v_cmp_eq_u32_e64 s[78:79], 3, v59
	s_nop 1
	v_cndmask_b32_e64 v78, v10, v1, s[78:79]
	v_cmp_eq_u32_e64 s[78:79], 2, v59
	v_mov_b32_dpp v10, v76 quad_perm:[2,3,0,1] row_mask:0xf bank_mask:0xf
	v_mov_b32_dpp v15, v78 quad_perm:[3,0,1,2] row_mask:0xf bank_mask:0xf
	v_cndmask_b32_e64 v79, v9, v1, s[78:79]
	v_cmp_eq_u32_e64 s[78:79], 1, v59
	v_mov_b32_dpp v9, v77 quad_perm:[1,2,3,0] row_mask:0xf bank_mask:0xf
	v_mov_b32_dpp v14, v79 quad_perm:[2,3,0,1] row_mask:0xf bank_mask:0xf
	;; [unrolled: 4-line block ×3, first 2 shown]
	v_cndmask_b32_e64 v12, v3, v1, s[78:79]
	v_mov_b32_dpp v1, v71 quad_perm:[1,2,3,0] row_mask:0xf bank_mask:0xf
	v_mov_b32_dpp v3, v69 quad_perm:[3,0,1,2] row_mask:0xf bank_mask:0xf
	s_cbranch_scc1 .LBB26_2
; %bb.3:
	s_branch .LBB26_5
.LBB26_4:
	v_mov_b64_e32 v[14:15], v[18:19]
	v_mov_b64_e32 v[10:11], v[20:21]
	;; [unrolled: 1-line block ×5, first 2 shown]
	v_mov_b32_e32 v8, v26
	v_mov_b32_e32 v9, v27
	;; [unrolled: 1-line block ×6, first 2 shown]
.LBB26_5:
	s_load_dwordx2 s[0:1], s[0:1], 0x0
	v_lshl_or_b32 v16, s2, 12, v16
	v_mov_b32_e32 v17, 0
	s_waitcnt lgkmcnt(0)
	v_lshl_add_u64 v[16:17], v[16:17], 2, s[0:1]
	global_store_dwordx4 v[16:17], v[12:15], off
	global_store_dwordx4 v[16:17], v[8:11], off offset:16
	global_store_dwordx4 v[16:17], v[4:7], off offset:32
	;; [unrolled: 1-line block ×3, first 2 shown]
	s_endpgm
.LBB26_6:
                                        ; implicit-def: $vgpr1
                                        ; implicit-def: $vgpr5
                                        ; implicit-def: $vgpr9
                                        ; implicit-def: $vgpr12_vgpr13
	s_cbranch_execnz .LBB26_4
	s_branch .LBB26_5
	.section	.rodata,"a",@progbits
	.p2align	6, 0x0
	.amdhsa_kernel _Z20warp_exchange_kernelILj256ELj16ELj32EN6common25StripedToBlockedShuffleOpEiEvPT3_j
		.amdhsa_group_segment_fixed_size 0
		.amdhsa_private_segment_fixed_size 0
		.amdhsa_kernarg_size 12
		.amdhsa_user_sgpr_count 2
		.amdhsa_user_sgpr_dispatch_ptr 0
		.amdhsa_user_sgpr_queue_ptr 0
		.amdhsa_user_sgpr_kernarg_segment_ptr 1
		.amdhsa_user_sgpr_dispatch_id 0
		.amdhsa_user_sgpr_kernarg_preload_length 0
		.amdhsa_user_sgpr_kernarg_preload_offset 0
		.amdhsa_user_sgpr_private_segment_size 0
		.amdhsa_uses_dynamic_stack 0
		.amdhsa_enable_private_segment 0
		.amdhsa_system_sgpr_workgroup_id_x 1
		.amdhsa_system_sgpr_workgroup_id_y 0
		.amdhsa_system_sgpr_workgroup_id_z 0
		.amdhsa_system_sgpr_workgroup_info 0
		.amdhsa_system_vgpr_workitem_id 0
		.amdhsa_next_free_vgpr 97
		.amdhsa_next_free_sgpr 80
		.amdhsa_accum_offset 100
		.amdhsa_reserve_vcc 1
		.amdhsa_float_round_mode_32 0
		.amdhsa_float_round_mode_16_64 0
		.amdhsa_float_denorm_mode_32 3
		.amdhsa_float_denorm_mode_16_64 3
		.amdhsa_dx10_clamp 1
		.amdhsa_ieee_mode 1
		.amdhsa_fp16_overflow 0
		.amdhsa_tg_split 0
		.amdhsa_exception_fp_ieee_invalid_op 0
		.amdhsa_exception_fp_denorm_src 0
		.amdhsa_exception_fp_ieee_div_zero 0
		.amdhsa_exception_fp_ieee_overflow 0
		.amdhsa_exception_fp_ieee_underflow 0
		.amdhsa_exception_fp_ieee_inexact 0
		.amdhsa_exception_int_div_zero 0
	.end_amdhsa_kernel
	.section	.text._Z20warp_exchange_kernelILj256ELj16ELj32EN6common25StripedToBlockedShuffleOpEiEvPT3_j,"axG",@progbits,_Z20warp_exchange_kernelILj256ELj16ELj32EN6common25StripedToBlockedShuffleOpEiEvPT3_j,comdat
.Lfunc_end26:
	.size	_Z20warp_exchange_kernelILj256ELj16ELj32EN6common25StripedToBlockedShuffleOpEiEvPT3_j, .Lfunc_end26-_Z20warp_exchange_kernelILj256ELj16ELj32EN6common25StripedToBlockedShuffleOpEiEvPT3_j
                                        ; -- End function
	.section	.AMDGPU.csdata,"",@progbits
; Kernel info:
; codeLenInByte = 11020
; NumSgprs: 86
; NumVgprs: 97
; NumAgprs: 0
; TotalNumVgprs: 97
; ScratchSize: 0
; MemoryBound: 0
; FloatMode: 240
; IeeeMode: 1
; LDSByteSize: 0 bytes/workgroup (compile time only)
; SGPRBlocks: 10
; VGPRBlocks: 12
; NumSGPRsForWavesPerEU: 86
; NumVGPRsForWavesPerEU: 97
; AccumOffset: 100
; Occupancy: 4
; WaveLimiterHint : 0
; COMPUTE_PGM_RSRC2:SCRATCH_EN: 0
; COMPUTE_PGM_RSRC2:USER_SGPR: 2
; COMPUTE_PGM_RSRC2:TRAP_HANDLER: 0
; COMPUTE_PGM_RSRC2:TGID_X_EN: 1
; COMPUTE_PGM_RSRC2:TGID_Y_EN: 0
; COMPUTE_PGM_RSRC2:TGID_Z_EN: 0
; COMPUTE_PGM_RSRC2:TIDIG_COMP_CNT: 0
; COMPUTE_PGM_RSRC3_GFX90A:ACCUM_OFFSET: 24
; COMPUTE_PGM_RSRC3_GFX90A:TG_SPLIT: 0
	.section	.text._Z20warp_exchange_kernelILj256ELj32ELj32EN6common25StripedToBlockedShuffleOpEiEvPT3_j,"axG",@progbits,_Z20warp_exchange_kernelILj256ELj32ELj32EN6common25StripedToBlockedShuffleOpEiEvPT3_j,comdat
	.protected	_Z20warp_exchange_kernelILj256ELj32ELj32EN6common25StripedToBlockedShuffleOpEiEvPT3_j ; -- Begin function _Z20warp_exchange_kernelILj256ELj32ELj32EN6common25StripedToBlockedShuffleOpEiEvPT3_j
	.globl	_Z20warp_exchange_kernelILj256ELj32ELj32EN6common25StripedToBlockedShuffleOpEiEvPT3_j
	.p2align	8
	.type	_Z20warp_exchange_kernelILj256ELj32ELj32EN6common25StripedToBlockedShuffleOpEiEvPT3_j,@function
_Z20warp_exchange_kernelILj256ELj32ELj32EN6common25StripedToBlockedShuffleOpEiEvPT3_j: ; @_Z20warp_exchange_kernelILj256ELj32ELj32EN6common25StripedToBlockedShuffleOpEiEvPT3_j
; %bb.0:
	s_load_dword s3, s[0:1], 0x8
	v_lshlrev_b32_e32 v32, 5, v0
	v_or_b32_e32 v5, 1, v32
	v_or_b32_e32 v7, 3, v32
	;; [unrolled: 1-line block ×30, first 2 shown]
	s_waitcnt lgkmcnt(0)
	s_cmp_eq_u32 s3, 0
	v_or_b32_e32 v2, 30, v32
	s_cbranch_scc1 .LBB27_3
; %bb.1:
	v_mbcnt_lo_u32_b32 v4, -1, 0
	v_mbcnt_hi_u32_b32 v4, -1, v4
	v_and_b32_e32 v34, 16, v4
	v_and_b32_e32 v50, 8, v4
	;; [unrolled: 1-line block ×5, first 2 shown]
	v_mov_b32_e32 v88, 0x44
	v_cmp_eq_u32_e32 vcc, 0, v34
	v_mov_b32_e32 v85, 0x48
	v_mov_b32_e32 v86, 0x4c
	;; [unrolled: 1-line block ×14, first 2 shown]
	v_lshlrev_b32_e32 v71, 2, v72
	v_cmp_eq_u32_e64 s[6:7], 0, v72
	v_cmp_eq_u32_e64 s[8:9], 0, v4
	v_lshlrev_b32_e32 v4, 2, v4
	v_lshlrev_b32_e32 v33, 2, v34
	v_mov_b32_e32 v61, 0
	v_cndmask_b32_e32 v34, 4, v88, vcc
	v_cndmask_b32_e32 v35, 8, v85, vcc
	;; [unrolled: 1-line block ×15, first 2 shown]
	v_lshlrev_b32_e32 v49, 2, v50
	v_cmp_eq_u32_e32 vcc, 0, v50
	v_lshlrev_b32_e32 v63, 2, v62
	v_cmp_eq_u32_e64 s[4:5], 0, v62
	v_xor_b32_e32 v71, 8, v71
	v_cndmask_b32_e64 v89, 4, 12, s[6:7]
	v_cndmask_b32_e64 v90, 8, 12, s[8:9]
	v_xor_b32_e32 v4, 4, v4
	v_xad_u32 v33, v33, 64, v61
	v_xad_u32 v49, v49, 32, v61
	v_cndmask_b32_e64 v50, 4, 36, vcc
	v_cndmask_b32_e64 v51, 8, 40, vcc
	;; [unrolled: 1-line block ×3, first 2 shown]
	v_cndmask_b32_e32 v53, 64, v77, vcc
	v_cndmask_b32_e32 v54, v88, v78, vcc
	;; [unrolled: 1-line block ×8, first 2 shown]
	v_xad_u32 v61, v63, 16, v61
	v_cndmask_b32_e64 v62, 4, 20, s[4:5]
	v_cndmask_b32_e64 v63, 64, v73, s[4:5]
	;; [unrolled: 1-line block ×9, first 2 shown]
	v_or_b32_e32 v71, 0, v71
	v_cndmask_b32_e64 v72, v73, v75, s[6:7]
	v_cndmask_b32_e64 v73, v73, v74, s[8:9]
	;; [unrolled: 1-line block ×15, first 2 shown]
	v_or_b32_e32 v87, 0, v4
	v_cndmask_b32_e64 v88, 64, v88, s[8:9]
	v_or_b32_e32 v89, 0, v89
	v_or_b32_e32 v90, 0, v90
	v_cndmask_b32_e64 v91, 16, 48, vcc
	v_cndmask_b32_e64 v92, 20, 52, vcc
	;; [unrolled: 1-line block ×4, first 2 shown]
	v_cndmask_b32_e64 v95, 8, 24, s[4:5]
	v_cndmask_b32_e64 v96, 12, 28, s[4:5]
	;; [unrolled: 1-line block ×18, first 2 shown]
	v_mov_b32_e32 v4, v32
.LBB27_2:                               ; =>This Inner Loop Header: Depth=1
	scratch_store_dwordx4 off, v[4:7], off
	s_waitcnt vmcnt(6)
	scratch_store_dwordx4 off, v[28:31], off offset:16
	scratch_store_dwordx4 off, v[16:19], off offset:32
	;; [unrolled: 1-line block ×4, first 2 shown]
	scratch_load_dword v4, v33, off
	s_add_i32 s3, s3, -1
	s_waitcnt vmcnt(10)
	scratch_store_dwordx4 off, v[12:15], off offset:80
	s_waitcnt vmcnt(10)
	scratch_store_dwordx4 off, v[8:11], off offset:96
	s_cmp_lg_u32 s3, 0
	s_waitcnt vmcnt(2)
	ds_swizzle_b32 v4, v4 offset:swizzle(SWAP,16)
	s_waitcnt lgkmcnt(0)
	scratch_store_dword v33, v4, off
	scratch_load_dword v4, v34, off
	s_waitcnt vmcnt(0)
	ds_swizzle_b32 v4, v4 offset:swizzle(SWAP,16)
	s_waitcnt lgkmcnt(0)
	scratch_store_dword v34, v4, off
	scratch_load_dword v4, v35, off
	;; [unrolled: 5-line block ×9, first 2 shown]
	s_nop 0
	scratch_load_dword v5, v49, off
	s_waitcnt vmcnt(1)
	ds_swizzle_b32 v4, v4 offset:swizzle(SWAP,16)
	s_waitcnt vmcnt(0)
	ds_swizzle_b32 v5, v5 offset:swizzle(SWAP,8)
	s_waitcnt lgkmcnt(1)
	scratch_store_dword v42, v4, off
	s_waitcnt lgkmcnt(0)
	scratch_store_dword v49, v5, off
	scratch_load_dword v4, v43, off
	s_nop 0
	scratch_load_dword v5, v50, off
	s_waitcnt vmcnt(1)
	ds_swizzle_b32 v4, v4 offset:swizzle(SWAP,16)
	s_waitcnt vmcnt(0)
	ds_swizzle_b32 v5, v5 offset:swizzle(SWAP,8)
	s_waitcnt lgkmcnt(1)
	scratch_store_dword v43, v4, off
	s_waitcnt lgkmcnt(0)
	scratch_store_dword v50, v5, off
	scratch_load_dword v4, v44, off
	s_nop 0
	scratch_load_dword v5, v51, off
	s_nop 0
	scratch_store_dwordx4 off, v[0:3], off offset:112
	s_waitcnt vmcnt(2)
	ds_swizzle_b32 v0, v4 offset:swizzle(SWAP,16)
	s_waitcnt vmcnt(1)
	ds_swizzle_b32 v1, v5 offset:swizzle(SWAP,8)
	s_waitcnt lgkmcnt(1)
	scratch_store_dword v44, v0, off
	s_waitcnt lgkmcnt(0)
	scratch_store_dword v51, v1, off
	scratch_load_dword v0, v45, off
	s_nop 0
	scratch_load_dword v1, v52, off
	s_waitcnt vmcnt(1)
	ds_swizzle_b32 v0, v0 offset:swizzle(SWAP,16)
	s_waitcnt vmcnt(0)
	ds_swizzle_b32 v1, v1 offset:swizzle(SWAP,8)
	s_waitcnt lgkmcnt(1)
	scratch_store_dword v45, v0, off
	s_waitcnt lgkmcnt(0)
	scratch_store_dword v52, v1, off
	scratch_load_dword v0, v46, off
	s_nop 0
	scratch_load_dword v1, v91, off
	;; [unrolled: 11-line block ×3, first 2 shown]
	scratch_load_dword v2, v61, off
	s_waitcnt vmcnt(2)
	ds_swizzle_b32 v0, v0 offset:swizzle(SWAP,16)
	s_waitcnt vmcnt(1)
	ds_swizzle_b32 v1, v1 offset:swizzle(SWAP,8)
	;; [unrolled: 2-line block ×3, first 2 shown]
	s_waitcnt lgkmcnt(2)
	scratch_store_dword v47, v0, off
	s_waitcnt lgkmcnt(1)
	scratch_store_dword v92, v1, off
	scratch_load_dword v0, v48, off
	s_nop 0
	scratch_load_dword v1, v93, off
	s_waitcnt vmcnt(1)
	ds_swizzle_b32 v0, v0 offset:swizzle(SWAP,16)
	s_waitcnt vmcnt(0)
	ds_swizzle_b32 v1, v1 offset:swizzle(SWAP,8)
	s_waitcnt lgkmcnt(2)
	scratch_store_dword v61, v2, off
	scratch_load_dword v2, v62, off
	s_waitcnt lgkmcnt(1)
	scratch_store_dword v48, v0, off
	s_waitcnt lgkmcnt(0)
	scratch_store_dword v93, v1, off
	scratch_load_dword v0, v53, off
	s_nop 0
	scratch_load_dword v1, v94, off
	s_waitcnt vmcnt(4)
	ds_swizzle_b32 v2, v2 offset:swizzle(SWAP,4)
	s_waitcnt vmcnt(1)
	ds_swizzle_b32 v0, v0 offset:swizzle(SWAP,8)
	s_waitcnt vmcnt(0)
	ds_swizzle_b32 v1, v1 offset:swizzle(SWAP,8)
	s_waitcnt lgkmcnt(2)
	scratch_store_dword v62, v2, off
	scratch_load_dword v2, v95, off
	s_waitcnt lgkmcnt(1)
	scratch_store_dword v53, v0, off
	scratch_load_dword v0, v54, off
	s_waitcnt vmcnt(2)
	ds_swizzle_b32 v2, v2 offset:swizzle(SWAP,4)
	s_waitcnt lgkmcnt(1)
	scratch_store_dword v94, v1, off
	s_waitcnt lgkmcnt(0)
	scratch_store_dword v95, v2, off
	s_waitcnt vmcnt(2)
	ds_swizzle_b32 v0, v0 offset:swizzle(SWAP,8)
	scratch_load_dword v1, v96, off
	scratch_load_dword v2, v71, off
	s_waitcnt vmcnt(1)
	ds_swizzle_b32 v1, v1 offset:swizzle(SWAP,4)
	s_waitcnt lgkmcnt(1)
	scratch_store_dword v54, v0, off
	scratch_load_dword v0, v55, off
	s_waitcnt vmcnt(2)
	ds_swizzle_b32 v2, v2 offset:swizzle(SWAP,2)
	s_waitcnt lgkmcnt(1)
	scratch_store_dword v96, v1, off
	s_waitcnt lgkmcnt(0)
	scratch_store_dword v71, v2, off
	scratch_load_dword v1, v97, off
	s_nop 0
	scratch_load_dword v2, v89, off
	scratch_load_dword v3, v101, off
	s_waitcnt vmcnt(5)
	ds_swizzle_b32 v0, v0 offset:swizzle(SWAP,8)
	s_waitcnt vmcnt(2)
	ds_swizzle_b32 v1, v1 offset:swizzle(SWAP,4)
	s_waitcnt lgkmcnt(1)
	scratch_store_dword v55, v0, off
	scratch_load_dword v0, v56, off
	s_waitcnt vmcnt(3)
	ds_swizzle_b32 v2, v2 offset:swizzle(SWAP,2)
	s_waitcnt vmcnt(2)
	ds_swizzle_b32 v3, v3 offset:swizzle(SWAP,2)
	s_waitcnt lgkmcnt(2)
	scratch_store_dword v97, v1, off
	s_waitcnt lgkmcnt(1)
	scratch_store_dword v89, v2, off
	;; [unrolled: 2-line block ×3, first 2 shown]
	scratch_load_dword v1, v98, off
	scratch_load_dword v2, v102, off
	s_nop 0
	scratch_load_dword v3, v90, off
	s_waitcnt vmcnt(6)
	ds_swizzle_b32 v0, v0 offset:swizzle(SWAP,8)
	s_waitcnt vmcnt(2)
	ds_swizzle_b32 v1, v1 offset:swizzle(SWAP,4)
	s_waitcnt lgkmcnt(1)
	scratch_store_dword v56, v0, off
	scratch_load_dword v0, v57, off
	s_waitcnt vmcnt(3)
	ds_swizzle_b32 v2, v2 offset:swizzle(SWAP,2)
	s_waitcnt vmcnt(2)
	ds_swizzle_b32 v3, v3 offset:swizzle(SWAP,1)
	s_waitcnt lgkmcnt(2)
	scratch_store_dword v98, v1, off
	scratch_load_dword v1, v99, off
	s_nop 0
	scratch_load_dword v4, v87, off
	s_waitcnt vmcnt(3)
	ds_swizzle_b32 v0, v0 offset:swizzle(SWAP,8)
	s_waitcnt lgkmcnt(2)
	scratch_store_dword v102, v2, off
	s_waitcnt vmcnt(2)
	ds_swizzle_b32 v1, v1 offset:swizzle(SWAP,4)
	s_waitcnt lgkmcnt(1)
	scratch_store_dword v57, v0, off
	scratch_load_dword v0, v58, off
	s_waitcnt vmcnt(0)
	ds_swizzle_b32 v0, v0 offset:swizzle(SWAP,8)
	s_waitcnt lgkmcnt(1)
	scratch_store_dword v99, v1, off
	scratch_load_dword v1, v100, off
	s_nop 0
	scratch_load_dword v2, v103, off
	scratch_load_dword v8, v107, off
	s_waitcnt vmcnt(2)
	ds_swizzle_b32 v1, v1 offset:swizzle(SWAP,4)
	s_waitcnt lgkmcnt(1)
	scratch_store_dword v58, v0, off
	scratch_load_dword v0, v59, off
	s_nop 0
	scratch_load_dword v5, v63, off
	s_waitcnt vmcnt(4)
	ds_swizzle_b32 v2, v2 offset:swizzle(SWAP,2)
	s_waitcnt lgkmcnt(1)
	scratch_store_dword v100, v1, off
	s_waitcnt lgkmcnt(0)
	scratch_store_dword v103, v2, off
	scratch_load_dword v1, v104, off
	s_nop 0
	scratch_load_dword v2, v108, off
	s_waitcnt vmcnt(7)
	ds_swizzle_b32 v8, v8 offset:swizzle(SWAP,1)
	s_waitcnt vmcnt(5)
	ds_swizzle_b32 v0, v0 offset:swizzle(SWAP,8)
	;; [unrolled: 2-line block ×3, first 2 shown]
	s_waitcnt lgkmcnt(1)
	scratch_store_dword v59, v0, off
	s_waitcnt lgkmcnt(0)
	scratch_store_dword v63, v5, off
	scratch_load_dword v0, v60, off
	s_nop 0
	scratch_load_dword v5, v64, off
	s_waitcnt vmcnt(5)
	ds_swizzle_b32 v1, v1 offset:swizzle(SWAP,2)
	s_waitcnt vmcnt(4)
	ds_swizzle_b32 v2, v2 offset:swizzle(SWAP,1)
	s_waitcnt lgkmcnt(1)
	scratch_store_dword v104, v1, off
	scratch_load_dword v1, v105, off
	s_nop 0
	scratch_load_dword v9, v109, off
	s_waitcnt vmcnt(4)
	ds_swizzle_b32 v0, v0 offset:swizzle(SWAP,8)
	s_waitcnt vmcnt(3)
	ds_swizzle_b32 v5, v5 offset:swizzle(SWAP,4)
	s_waitcnt lgkmcnt(1)
	scratch_store_dword v60, v0, off
	s_waitcnt lgkmcnt(0)
	scratch_store_dword v64, v5, off
	scratch_load_dword v0, v65, off
	s_nop 0
	scratch_load_dword v5, v67, off
	s_waitcnt vmcnt(5)
	ds_swizzle_b32 v1, v1 offset:swizzle(SWAP,2)
	s_waitcnt lgkmcnt(0)
	scratch_store_dword v105, v1, off
	scratch_load_dword v1, v106, off
	s_nop 0
	scratch_load_dword v10, v110, off
	s_waitcnt vmcnt(4)
	ds_swizzle_b32 v0, v0 offset:swizzle(SWAP,4)
	s_waitcnt vmcnt(3)
	ds_swizzle_b32 v5, v5 offset:swizzle(SWAP,4)
	s_waitcnt lgkmcnt(1)
	scratch_store_dword v65, v0, off
	s_waitcnt lgkmcnt(0)
	scratch_store_dword v67, v5, off
	scratch_load_dword v0, v68, off
	s_nop 0
	scratch_load_dword v5, v66, off
	s_waitcnt vmcnt(5)
	ds_swizzle_b32 v1, v1 offset:swizzle(SWAP,2)
	s_waitcnt lgkmcnt(0)
	scratch_store_dword v106, v1, off
	scratch_load_dword v1, v84, off
	s_nop 0
	scratch_load_dword v11, v111, off
	s_waitcnt vmcnt(4)
	ds_swizzle_b32 v0, v0 offset:swizzle(SWAP,4)
	scratch_store_dword v90, v3, off
	ds_swizzle_b32 v3, v4 offset:swizzle(SWAP,1)
	s_waitcnt lgkmcnt(1)
	scratch_store_dword v68, v0, off
	scratch_load_dword v0, v69, off
	s_waitcnt vmcnt(4)
	ds_swizzle_b32 v1, v1 offset:swizzle(SWAP,2)
	s_waitcnt lgkmcnt(1)
	scratch_store_dword v87, v3, off
	ds_swizzle_b32 v3, v5 offset:swizzle(SWAP,4)
	s_waitcnt lgkmcnt(0)
	scratch_store_dword v66, v3, off
	scratch_store_dword v84, v1, off
	scratch_load_dword v1, v86, off
	s_nop 0
	scratch_load_dword v3, v112, off
	scratch_load_dwordx4 v[4:7], off, off
	s_waitcnt vmcnt(6)
	ds_swizzle_b32 v0, v0 offset:swizzle(SWAP,4)
	s_waitcnt lgkmcnt(0)
	scratch_store_dword v69, v0, off
	scratch_load_dword v0, v70, off
	s_nop 0
	scratch_load_dword v12, v72, off
	scratch_load_dword v13, v76, off
	s_waitcnt vmcnt(6)
	ds_swizzle_b32 v1, v1 offset:swizzle(SWAP,2)
	s_waitcnt lgkmcnt(0)
	scratch_store_dword v86, v1, off
	scratch_load_dword v1, v88, off
	s_waitcnt vmcnt(4)
	ds_swizzle_b32 v0, v0 offset:swizzle(SWAP,4)
	s_waitcnt vmcnt(3)
	ds_swizzle_b32 v12, v12 offset:swizzle(SWAP,2)
	;; [unrolled: 2-line block ×3, first 2 shown]
	s_waitcnt lgkmcnt(2)
	scratch_store_dword v70, v0, off
	s_waitcnt lgkmcnt(1)
	scratch_store_dword v72, v12, off
	s_waitcnt lgkmcnt(0)
	scratch_store_dword v76, v13, off
	scratch_load_dword v0, v80, off
	scratch_load_dword v12, v74, off
	s_nop 0
	scratch_load_dword v13, v78, off
	scratch_load_dword v14, v85, off
	s_waitcnt vmcnt(7)
	ds_swizzle_b32 v1, v1 offset:swizzle(SWAP,1)
	s_waitcnt vmcnt(3)
	ds_swizzle_b32 v0, v0 offset:swizzle(SWAP,2)
	;; [unrolled: 2-line block ×4, first 2 shown]
	s_waitcnt lgkmcnt(2)
	scratch_store_dword v80, v0, off
	scratch_load_dword v0, v82, off
	s_waitcnt lgkmcnt(1)
	scratch_store_dword v74, v12, off
	s_waitcnt lgkmcnt(0)
	scratch_store_dword v78, v13, off
	scratch_load_dword v12, v73, off
	s_nop 0
	scratch_load_dword v13, v75, off
	scratch_load_dword v15, v77, off
	scratch_load_dword v28, v79, off
	s_waitcnt vmcnt(6)
	ds_swizzle_b32 v0, v0 offset:swizzle(SWAP,2)
	s_waitcnt lgkmcnt(0)
	scratch_store_dword v82, v0, off
	scratch_load_dword v0, v81, off
	s_nop 0
	scratch_load_dword v113, v83, off
	s_waitcnt vmcnt(1)
	ds_swizzle_b32 v0, v0 offset:swizzle(SWAP,1)
	scratch_store_dword v108, v2, off
	ds_swizzle_b32 v2, v9 offset:swizzle(SWAP,1)
	scratch_store_dword v88, v1, off
	;; [unrolled: 2-line block ×3, first 2 shown]
	ds_swizzle_b32 v8, v28 offset:swizzle(SWAP,1)
	s_waitcnt lgkmcnt(2)
	scratch_store_dword v109, v2, off
	ds_swizzle_b32 v2, v10 offset:swizzle(SWAP,1)
	s_waitcnt lgkmcnt(2)
	scratch_store_dword v85, v1, off
	ds_swizzle_b32 v1, v12 offset:swizzle(SWAP,1)
	scratch_load_dwordx4 v[24:27], off, off offset:64
	s_waitcnt lgkmcnt(1)
	scratch_store_dword v110, v2, off
	ds_swizzle_b32 v2, v11 offset:swizzle(SWAP,1)
	scratch_load_dwordx4 v[16:19], off, off offset:32
	s_waitcnt lgkmcnt(0)
	scratch_store_dword v111, v2, off
	ds_swizzle_b32 v2, v3 offset:swizzle(SWAP,1)
	ds_swizzle_b32 v3, v15 offset:swizzle(SWAP,1)
	s_waitcnt lgkmcnt(1)
	scratch_store_dword v112, v2, off
	scratch_load_dwordx4 v[20:23], off, off offset:48
	ds_swizzle_b32 v2, v13 offset:swizzle(SWAP,1)
	scratch_store_dword v73, v1, off
	s_waitcnt lgkmcnt(0)
	scratch_store_dword v75, v2, off
	scratch_store_dword v77, v3, off
	s_waitcnt vmcnt(14)
	ds_swizzle_b32 v1, v113 offset:swizzle(SWAP,1)
	scratch_store_dword v79, v8, off
	scratch_load_dwordx4 v[28:31], off, off offset:16
	scratch_load_dwordx4 v[12:15], off, off offset:80
	s_nop 0
	scratch_load_dwordx4 v[8:11], off, off offset:96
	s_nop 0
	scratch_store_dword v81, v0, off
	s_waitcnt lgkmcnt(0)
	scratch_store_dword v83, v1, off
	scratch_load_dwordx4 v[0:3], off, off offset:112
	; wave barrier
	s_cbranch_scc1 .LBB27_2
	s_branch .LBB27_4
.LBB27_3:
	v_mov_b32_e32 v33, v5
	v_mov_b64_e32 v[4:5], v[32:33]
.LBB27_4:
	s_load_dwordx2 s[0:1], s[0:1], 0x0
	v_lshl_or_b32 v32, s2, 13, v32
	v_mov_b32_e32 v33, 0
	s_waitcnt lgkmcnt(0)
	v_lshl_add_u64 v[32:33], v[32:33], 2, s[0:1]
	global_store_dwordx4 v[32:33], v[4:7], off
	s_waitcnt vmcnt(6)
	global_store_dwordx4 v[32:33], v[28:31], off offset:16
	global_store_dwordx4 v[32:33], v[16:19], off offset:32
	;; [unrolled: 1-line block ×4, first 2 shown]
	s_waitcnt vmcnt(9)
	global_store_dwordx4 v[32:33], v[12:15], off offset:80
	s_waitcnt vmcnt(9)
	global_store_dwordx4 v[32:33], v[8:11], off offset:96
	;; [unrolled: 2-line block ×3, first 2 shown]
	s_endpgm
	.section	.rodata,"a",@progbits
	.p2align	6, 0x0
	.amdhsa_kernel _Z20warp_exchange_kernelILj256ELj32ELj32EN6common25StripedToBlockedShuffleOpEiEvPT3_j
		.amdhsa_group_segment_fixed_size 0
		.amdhsa_private_segment_fixed_size 144
		.amdhsa_kernarg_size 12
		.amdhsa_user_sgpr_count 2
		.amdhsa_user_sgpr_dispatch_ptr 0
		.amdhsa_user_sgpr_queue_ptr 0
		.amdhsa_user_sgpr_kernarg_segment_ptr 1
		.amdhsa_user_sgpr_dispatch_id 0
		.amdhsa_user_sgpr_kernarg_preload_length 0
		.amdhsa_user_sgpr_kernarg_preload_offset 0
		.amdhsa_user_sgpr_private_segment_size 0
		.amdhsa_uses_dynamic_stack 0
		.amdhsa_enable_private_segment 1
		.amdhsa_system_sgpr_workgroup_id_x 1
		.amdhsa_system_sgpr_workgroup_id_y 0
		.amdhsa_system_sgpr_workgroup_id_z 0
		.amdhsa_system_sgpr_workgroup_info 0
		.amdhsa_system_vgpr_workitem_id 0
		.amdhsa_next_free_vgpr 114
		.amdhsa_next_free_sgpr 10
		.amdhsa_accum_offset 116
		.amdhsa_reserve_vcc 1
		.amdhsa_float_round_mode_32 0
		.amdhsa_float_round_mode_16_64 0
		.amdhsa_float_denorm_mode_32 3
		.amdhsa_float_denorm_mode_16_64 3
		.amdhsa_dx10_clamp 1
		.amdhsa_ieee_mode 1
		.amdhsa_fp16_overflow 0
		.amdhsa_tg_split 0
		.amdhsa_exception_fp_ieee_invalid_op 0
		.amdhsa_exception_fp_denorm_src 0
		.amdhsa_exception_fp_ieee_div_zero 0
		.amdhsa_exception_fp_ieee_overflow 0
		.amdhsa_exception_fp_ieee_underflow 0
		.amdhsa_exception_fp_ieee_inexact 0
		.amdhsa_exception_int_div_zero 0
	.end_amdhsa_kernel
	.section	.text._Z20warp_exchange_kernelILj256ELj32ELj32EN6common25StripedToBlockedShuffleOpEiEvPT3_j,"axG",@progbits,_Z20warp_exchange_kernelILj256ELj32ELj32EN6common25StripedToBlockedShuffleOpEiEvPT3_j,comdat
.Lfunc_end27:
	.size	_Z20warp_exchange_kernelILj256ELj32ELj32EN6common25StripedToBlockedShuffleOpEiEvPT3_j, .Lfunc_end27-_Z20warp_exchange_kernelILj256ELj32ELj32EN6common25StripedToBlockedShuffleOpEiEvPT3_j
                                        ; -- End function
	.section	.AMDGPU.csdata,"",@progbits
; Kernel info:
; codeLenInByte = 3792
; NumSgprs: 16
; NumVgprs: 114
; NumAgprs: 0
; TotalNumVgprs: 114
; ScratchSize: 144
; MemoryBound: 0
; FloatMode: 240
; IeeeMode: 1
; LDSByteSize: 0 bytes/workgroup (compile time only)
; SGPRBlocks: 1
; VGPRBlocks: 14
; NumSGPRsForWavesPerEU: 16
; NumVGPRsForWavesPerEU: 114
; AccumOffset: 116
; Occupancy: 4
; WaveLimiterHint : 0
; COMPUTE_PGM_RSRC2:SCRATCH_EN: 1
; COMPUTE_PGM_RSRC2:USER_SGPR: 2
; COMPUTE_PGM_RSRC2:TRAP_HANDLER: 0
; COMPUTE_PGM_RSRC2:TGID_X_EN: 1
; COMPUTE_PGM_RSRC2:TGID_Y_EN: 0
; COMPUTE_PGM_RSRC2:TGID_Z_EN: 0
; COMPUTE_PGM_RSRC2:TIDIG_COMP_CNT: 0
; COMPUTE_PGM_RSRC3_GFX90A:ACCUM_OFFSET: 28
; COMPUTE_PGM_RSRC3_GFX90A:TG_SPLIT: 0
	.section	.text._Z20warp_exchange_kernelILj256ELj1ELj16E18ScatterToStripedOpiEvPT3_j,"axG",@progbits,_Z20warp_exchange_kernelILj256ELj1ELj16E18ScatterToStripedOpiEvPT3_j,comdat
	.protected	_Z20warp_exchange_kernelILj256ELj1ELj16E18ScatterToStripedOpiEvPT3_j ; -- Begin function _Z20warp_exchange_kernelILj256ELj1ELj16E18ScatterToStripedOpiEvPT3_j
	.globl	_Z20warp_exchange_kernelILj256ELj1ELj16E18ScatterToStripedOpiEvPT3_j
	.p2align	8
	.type	_Z20warp_exchange_kernelILj256ELj1ELj16E18ScatterToStripedOpiEvPT3_j,@function
_Z20warp_exchange_kernelILj256ELj1ELj16E18ScatterToStripedOpiEvPT3_j: ; @_Z20warp_exchange_kernelILj256ELj1ELj16E18ScatterToStripedOpiEvPT3_j
; %bb.0:
	s_load_dword s3, s[0:1], 0x8
	s_waitcnt lgkmcnt(0)
	s_cmp_eq_u32 s3, 0
	s_cbranch_scc1 .LBB28_3
; %bb.1:
	v_lshlrev_b32_e32 v2, 2, v0
	v_and_b32_e32 v3, 0x3c0, v2
	v_mbcnt_lo_u32_b32 v2, -1, 0
	v_not_b32_e32 v1, v0
	v_mbcnt_hi_u32_b32 v2, -1, v2
	v_and_b32_e32 v1, 15, v1
	v_and_b32_e32 v4, 15, v2
	v_lshl_or_b32 v2, v1, 2, v3
	v_lshl_or_b32 v3, v4, 2, v3
	v_mov_b32_e32 v1, v0
.LBB28_2:                               ; =>This Inner Loop Header: Depth=1
	s_waitcnt lgkmcnt(0)
	ds_write_b32 v2, v1
	; wave barrier
	ds_read_b32 v1, v3
	s_add_i32 s3, s3, -1
	s_cmp_lg_u32 s3, 0
	; wave barrier
	s_cbranch_scc1 .LBB28_2
	s_branch .LBB28_4
.LBB28_3:
	v_mov_b32_e32 v1, v0
.LBB28_4:
	s_load_dwordx2 s[0:1], s[0:1], 0x0
	v_lshl_or_b32 v2, s2, 8, v0
	v_mov_b32_e32 v3, 0
	s_waitcnt lgkmcnt(0)
	v_lshl_add_u64 v[2:3], v[2:3], 2, s[0:1]
	global_store_dword v[2:3], v1, off
	s_endpgm
	.section	.rodata,"a",@progbits
	.p2align	6, 0x0
	.amdhsa_kernel _Z20warp_exchange_kernelILj256ELj1ELj16E18ScatterToStripedOpiEvPT3_j
		.amdhsa_group_segment_fixed_size 1024
		.amdhsa_private_segment_fixed_size 0
		.amdhsa_kernarg_size 12
		.amdhsa_user_sgpr_count 2
		.amdhsa_user_sgpr_dispatch_ptr 0
		.amdhsa_user_sgpr_queue_ptr 0
		.amdhsa_user_sgpr_kernarg_segment_ptr 1
		.amdhsa_user_sgpr_dispatch_id 0
		.amdhsa_user_sgpr_kernarg_preload_length 0
		.amdhsa_user_sgpr_kernarg_preload_offset 0
		.amdhsa_user_sgpr_private_segment_size 0
		.amdhsa_uses_dynamic_stack 0
		.amdhsa_enable_private_segment 0
		.amdhsa_system_sgpr_workgroup_id_x 1
		.amdhsa_system_sgpr_workgroup_id_y 0
		.amdhsa_system_sgpr_workgroup_id_z 0
		.amdhsa_system_sgpr_workgroup_info 0
		.amdhsa_system_vgpr_workitem_id 0
		.amdhsa_next_free_vgpr 5
		.amdhsa_next_free_sgpr 4
		.amdhsa_accum_offset 8
		.amdhsa_reserve_vcc 0
		.amdhsa_float_round_mode_32 0
		.amdhsa_float_round_mode_16_64 0
		.amdhsa_float_denorm_mode_32 3
		.amdhsa_float_denorm_mode_16_64 3
		.amdhsa_dx10_clamp 1
		.amdhsa_ieee_mode 1
		.amdhsa_fp16_overflow 0
		.amdhsa_tg_split 0
		.amdhsa_exception_fp_ieee_invalid_op 0
		.amdhsa_exception_fp_denorm_src 0
		.amdhsa_exception_fp_ieee_div_zero 0
		.amdhsa_exception_fp_ieee_overflow 0
		.amdhsa_exception_fp_ieee_underflow 0
		.amdhsa_exception_fp_ieee_inexact 0
		.amdhsa_exception_int_div_zero 0
	.end_amdhsa_kernel
	.section	.text._Z20warp_exchange_kernelILj256ELj1ELj16E18ScatterToStripedOpiEvPT3_j,"axG",@progbits,_Z20warp_exchange_kernelILj256ELj1ELj16E18ScatterToStripedOpiEvPT3_j,comdat
.Lfunc_end28:
	.size	_Z20warp_exchange_kernelILj256ELj1ELj16E18ScatterToStripedOpiEvPT3_j, .Lfunc_end28-_Z20warp_exchange_kernelILj256ELj1ELj16E18ScatterToStripedOpiEvPT3_j
                                        ; -- End function
	.section	.AMDGPU.csdata,"",@progbits
; Kernel info:
; codeLenInByte = 164
; NumSgprs: 10
; NumVgprs: 5
; NumAgprs: 0
; TotalNumVgprs: 5
; ScratchSize: 0
; MemoryBound: 0
; FloatMode: 240
; IeeeMode: 1
; LDSByteSize: 1024 bytes/workgroup (compile time only)
; SGPRBlocks: 1
; VGPRBlocks: 0
; NumSGPRsForWavesPerEU: 10
; NumVGPRsForWavesPerEU: 5
; AccumOffset: 8
; Occupancy: 8
; WaveLimiterHint : 0
; COMPUTE_PGM_RSRC2:SCRATCH_EN: 0
; COMPUTE_PGM_RSRC2:USER_SGPR: 2
; COMPUTE_PGM_RSRC2:TRAP_HANDLER: 0
; COMPUTE_PGM_RSRC2:TGID_X_EN: 1
; COMPUTE_PGM_RSRC2:TGID_Y_EN: 0
; COMPUTE_PGM_RSRC2:TGID_Z_EN: 0
; COMPUTE_PGM_RSRC2:TIDIG_COMP_CNT: 0
; COMPUTE_PGM_RSRC3_GFX90A:ACCUM_OFFSET: 1
; COMPUTE_PGM_RSRC3_GFX90A:TG_SPLIT: 0
	.section	.text._Z20warp_exchange_kernelILj256ELj1ELj32E18ScatterToStripedOpiEvPT3_j,"axG",@progbits,_Z20warp_exchange_kernelILj256ELj1ELj32E18ScatterToStripedOpiEvPT3_j,comdat
	.protected	_Z20warp_exchange_kernelILj256ELj1ELj32E18ScatterToStripedOpiEvPT3_j ; -- Begin function _Z20warp_exchange_kernelILj256ELj1ELj32E18ScatterToStripedOpiEvPT3_j
	.globl	_Z20warp_exchange_kernelILj256ELj1ELj32E18ScatterToStripedOpiEvPT3_j
	.p2align	8
	.type	_Z20warp_exchange_kernelILj256ELj1ELj32E18ScatterToStripedOpiEvPT3_j,@function
_Z20warp_exchange_kernelILj256ELj1ELj32E18ScatterToStripedOpiEvPT3_j: ; @_Z20warp_exchange_kernelILj256ELj1ELj32E18ScatterToStripedOpiEvPT3_j
; %bb.0:
	s_load_dword s3, s[0:1], 0x8
	s_waitcnt lgkmcnt(0)
	s_cmp_eq_u32 s3, 0
	s_cbranch_scc1 .LBB29_3
; %bb.1:
	v_lshlrev_b32_e32 v2, 2, v0
	v_and_b32_e32 v3, 0x380, v2
	v_mbcnt_lo_u32_b32 v2, -1, 0
	v_not_b32_e32 v1, v0
	v_mbcnt_hi_u32_b32 v2, -1, v2
	v_and_b32_e32 v1, 31, v1
	v_and_b32_e32 v4, 31, v2
	v_lshl_or_b32 v2, v1, 2, v3
	v_lshl_or_b32 v3, v4, 2, v3
	v_mov_b32_e32 v1, v0
.LBB29_2:                               ; =>This Inner Loop Header: Depth=1
	s_waitcnt lgkmcnt(0)
	ds_write_b32 v2, v1
	; wave barrier
	ds_read_b32 v1, v3
	s_add_i32 s3, s3, -1
	s_cmp_lg_u32 s3, 0
	; wave barrier
	s_cbranch_scc1 .LBB29_2
	s_branch .LBB29_4
.LBB29_3:
	v_mov_b32_e32 v1, v0
.LBB29_4:
	s_load_dwordx2 s[0:1], s[0:1], 0x0
	v_lshl_or_b32 v2, s2, 8, v0
	v_mov_b32_e32 v3, 0
	s_waitcnt lgkmcnt(0)
	v_lshl_add_u64 v[2:3], v[2:3], 2, s[0:1]
	global_store_dword v[2:3], v1, off
	s_endpgm
	.section	.rodata,"a",@progbits
	.p2align	6, 0x0
	.amdhsa_kernel _Z20warp_exchange_kernelILj256ELj1ELj32E18ScatterToStripedOpiEvPT3_j
		.amdhsa_group_segment_fixed_size 1024
		.amdhsa_private_segment_fixed_size 0
		.amdhsa_kernarg_size 12
		.amdhsa_user_sgpr_count 2
		.amdhsa_user_sgpr_dispatch_ptr 0
		.amdhsa_user_sgpr_queue_ptr 0
		.amdhsa_user_sgpr_kernarg_segment_ptr 1
		.amdhsa_user_sgpr_dispatch_id 0
		.amdhsa_user_sgpr_kernarg_preload_length 0
		.amdhsa_user_sgpr_kernarg_preload_offset 0
		.amdhsa_user_sgpr_private_segment_size 0
		.amdhsa_uses_dynamic_stack 0
		.amdhsa_enable_private_segment 0
		.amdhsa_system_sgpr_workgroup_id_x 1
		.amdhsa_system_sgpr_workgroup_id_y 0
		.amdhsa_system_sgpr_workgroup_id_z 0
		.amdhsa_system_sgpr_workgroup_info 0
		.amdhsa_system_vgpr_workitem_id 0
		.amdhsa_next_free_vgpr 5
		.amdhsa_next_free_sgpr 4
		.amdhsa_accum_offset 8
		.amdhsa_reserve_vcc 0
		.amdhsa_float_round_mode_32 0
		.amdhsa_float_round_mode_16_64 0
		.amdhsa_float_denorm_mode_32 3
		.amdhsa_float_denorm_mode_16_64 3
		.amdhsa_dx10_clamp 1
		.amdhsa_ieee_mode 1
		.amdhsa_fp16_overflow 0
		.amdhsa_tg_split 0
		.amdhsa_exception_fp_ieee_invalid_op 0
		.amdhsa_exception_fp_denorm_src 0
		.amdhsa_exception_fp_ieee_div_zero 0
		.amdhsa_exception_fp_ieee_overflow 0
		.amdhsa_exception_fp_ieee_underflow 0
		.amdhsa_exception_fp_ieee_inexact 0
		.amdhsa_exception_int_div_zero 0
	.end_amdhsa_kernel
	.section	.text._Z20warp_exchange_kernelILj256ELj1ELj32E18ScatterToStripedOpiEvPT3_j,"axG",@progbits,_Z20warp_exchange_kernelILj256ELj1ELj32E18ScatterToStripedOpiEvPT3_j,comdat
.Lfunc_end29:
	.size	_Z20warp_exchange_kernelILj256ELj1ELj32E18ScatterToStripedOpiEvPT3_j, .Lfunc_end29-_Z20warp_exchange_kernelILj256ELj1ELj32E18ScatterToStripedOpiEvPT3_j
                                        ; -- End function
	.section	.AMDGPU.csdata,"",@progbits
; Kernel info:
; codeLenInByte = 164
; NumSgprs: 10
; NumVgprs: 5
; NumAgprs: 0
; TotalNumVgprs: 5
; ScratchSize: 0
; MemoryBound: 0
; FloatMode: 240
; IeeeMode: 1
; LDSByteSize: 1024 bytes/workgroup (compile time only)
; SGPRBlocks: 1
; VGPRBlocks: 0
; NumSGPRsForWavesPerEU: 10
; NumVGPRsForWavesPerEU: 5
; AccumOffset: 8
; Occupancy: 8
; WaveLimiterHint : 0
; COMPUTE_PGM_RSRC2:SCRATCH_EN: 0
; COMPUTE_PGM_RSRC2:USER_SGPR: 2
; COMPUTE_PGM_RSRC2:TRAP_HANDLER: 0
; COMPUTE_PGM_RSRC2:TGID_X_EN: 1
; COMPUTE_PGM_RSRC2:TGID_Y_EN: 0
; COMPUTE_PGM_RSRC2:TGID_Z_EN: 0
; COMPUTE_PGM_RSRC2:TIDIG_COMP_CNT: 0
; COMPUTE_PGM_RSRC3_GFX90A:ACCUM_OFFSET: 1
; COMPUTE_PGM_RSRC3_GFX90A:TG_SPLIT: 0
	.section	.text._Z20warp_exchange_kernelILj256ELj4ELj16E18ScatterToStripedOpiEvPT3_j,"axG",@progbits,_Z20warp_exchange_kernelILj256ELj4ELj16E18ScatterToStripedOpiEvPT3_j,comdat
	.protected	_Z20warp_exchange_kernelILj256ELj4ELj16E18ScatterToStripedOpiEvPT3_j ; -- Begin function _Z20warp_exchange_kernelILj256ELj4ELj16E18ScatterToStripedOpiEvPT3_j
	.globl	_Z20warp_exchange_kernelILj256ELj4ELj16E18ScatterToStripedOpiEvPT3_j
	.p2align	8
	.type	_Z20warp_exchange_kernelILj256ELj4ELj16E18ScatterToStripedOpiEvPT3_j,@function
_Z20warp_exchange_kernelILj256ELj4ELj16E18ScatterToStripedOpiEvPT3_j: ; @_Z20warp_exchange_kernelILj256ELj4ELj16E18ScatterToStripedOpiEvPT3_j
; %bb.0:
	s_load_dword s3, s[0:1], 0x8
	v_lshlrev_b32_e32 v2, 2, v0
	v_or_b32_e32 v7, 1, v2
	v_or_b32_e32 v4, 2, v2
	;; [unrolled: 1-line block ×3, first 2 shown]
	s_waitcnt lgkmcnt(0)
	s_cmp_eq_u32 s3, 0
	s_cbranch_scc1 .LBB30_4
; %bb.1:
	v_lshlrev_b32_e32 v0, 4, v0
	v_and_b32_e32 v1, 60, v2
	v_and_b32_e32 v6, 0xf00, v0
	v_mbcnt_lo_u32_b32 v0, -1, 0
	v_xor_b32_e32 v3, 60, v1
	v_mbcnt_hi_u32_b32 v8, -1, v0
	v_lshl_or_b32 v0, v3, 2, v6
	v_and_b32_e32 v3, 15, v8
	v_lshl_or_b32 v1, v1, 2, v6
	v_lshl_or_b32 v3, v3, 2, v6
	v_mov_b32_e32 v6, v2
.LBB30_2:                               ; =>This Inner Loop Header: Depth=1
	s_waitcnt lgkmcnt(1)
	ds_write_b32 v0, v6
	ds_write_b32 v1, v7 offset:4
	s_waitcnt lgkmcnt(2)
	ds_write_b32 v0, v4 offset:8
	ds_write_b32 v1, v5 offset:12
	; wave barrier
	ds_read2_b32 v[6:7], v3 offset1:16
	ds_read2_b32 v[4:5], v3 offset0:32 offset1:48
	s_add_i32 s3, s3, -1
	s_cmp_lg_u32 s3, 0
	; wave barrier
	s_cbranch_scc1 .LBB30_2
; %bb.3:
	s_waitcnt lgkmcnt(0)
	v_mov_b32_e32 v8, v4
	v_mov_b32_e32 v9, v5
	s_branch .LBB30_5
.LBB30_4:
	v_mov_b32_e32 v3, v7
	v_mov_b64_e32 v[8:9], v[4:5]
	v_mov_b64_e32 v[6:7], v[2:3]
.LBB30_5:
	s_load_dwordx2 s[0:1], s[0:1], 0x0
	v_lshl_or_b32 v0, s2, 10, v2
	v_mov_b32_e32 v1, 0
	s_waitcnt lgkmcnt(0)
	v_lshl_add_u64 v[0:1], v[0:1], 2, s[0:1]
	global_store_dwordx4 v[0:1], v[6:9], off
	s_endpgm
	.section	.rodata,"a",@progbits
	.p2align	6, 0x0
	.amdhsa_kernel _Z20warp_exchange_kernelILj256ELj4ELj16E18ScatterToStripedOpiEvPT3_j
		.amdhsa_group_segment_fixed_size 4096
		.amdhsa_private_segment_fixed_size 0
		.amdhsa_kernarg_size 12
		.amdhsa_user_sgpr_count 2
		.amdhsa_user_sgpr_dispatch_ptr 0
		.amdhsa_user_sgpr_queue_ptr 0
		.amdhsa_user_sgpr_kernarg_segment_ptr 1
		.amdhsa_user_sgpr_dispatch_id 0
		.amdhsa_user_sgpr_kernarg_preload_length 0
		.amdhsa_user_sgpr_kernarg_preload_offset 0
		.amdhsa_user_sgpr_private_segment_size 0
		.amdhsa_uses_dynamic_stack 0
		.amdhsa_enable_private_segment 0
		.amdhsa_system_sgpr_workgroup_id_x 1
		.amdhsa_system_sgpr_workgroup_id_y 0
		.amdhsa_system_sgpr_workgroup_id_z 0
		.amdhsa_system_sgpr_workgroup_info 0
		.amdhsa_system_vgpr_workitem_id 0
		.amdhsa_next_free_vgpr 10
		.amdhsa_next_free_sgpr 4
		.amdhsa_accum_offset 12
		.amdhsa_reserve_vcc 0
		.amdhsa_float_round_mode_32 0
		.amdhsa_float_round_mode_16_64 0
		.amdhsa_float_denorm_mode_32 3
		.amdhsa_float_denorm_mode_16_64 3
		.amdhsa_dx10_clamp 1
		.amdhsa_ieee_mode 1
		.amdhsa_fp16_overflow 0
		.amdhsa_tg_split 0
		.amdhsa_exception_fp_ieee_invalid_op 0
		.amdhsa_exception_fp_denorm_src 0
		.amdhsa_exception_fp_ieee_div_zero 0
		.amdhsa_exception_fp_ieee_overflow 0
		.amdhsa_exception_fp_ieee_underflow 0
		.amdhsa_exception_fp_ieee_inexact 0
		.amdhsa_exception_int_div_zero 0
	.end_amdhsa_kernel
	.section	.text._Z20warp_exchange_kernelILj256ELj4ELj16E18ScatterToStripedOpiEvPT3_j,"axG",@progbits,_Z20warp_exchange_kernelILj256ELj4ELj16E18ScatterToStripedOpiEvPT3_j,comdat
.Lfunc_end30:
	.size	_Z20warp_exchange_kernelILj256ELj4ELj16E18ScatterToStripedOpiEvPT3_j, .Lfunc_end30-_Z20warp_exchange_kernelILj256ELj4ELj16E18ScatterToStripedOpiEvPT3_j
                                        ; -- End function
	.section	.AMDGPU.csdata,"",@progbits
; Kernel info:
; codeLenInByte = 244
; NumSgprs: 10
; NumVgprs: 10
; NumAgprs: 0
; TotalNumVgprs: 10
; ScratchSize: 0
; MemoryBound: 0
; FloatMode: 240
; IeeeMode: 1
; LDSByteSize: 4096 bytes/workgroup (compile time only)
; SGPRBlocks: 1
; VGPRBlocks: 1
; NumSGPRsForWavesPerEU: 10
; NumVGPRsForWavesPerEU: 10
; AccumOffset: 12
; Occupancy: 8
; WaveLimiterHint : 0
; COMPUTE_PGM_RSRC2:SCRATCH_EN: 0
; COMPUTE_PGM_RSRC2:USER_SGPR: 2
; COMPUTE_PGM_RSRC2:TRAP_HANDLER: 0
; COMPUTE_PGM_RSRC2:TGID_X_EN: 1
; COMPUTE_PGM_RSRC2:TGID_Y_EN: 0
; COMPUTE_PGM_RSRC2:TGID_Z_EN: 0
; COMPUTE_PGM_RSRC2:TIDIG_COMP_CNT: 0
; COMPUTE_PGM_RSRC3_GFX90A:ACCUM_OFFSET: 2
; COMPUTE_PGM_RSRC3_GFX90A:TG_SPLIT: 0
	.section	.text._Z20warp_exchange_kernelILj256ELj4ELj32E18ScatterToStripedOpiEvPT3_j,"axG",@progbits,_Z20warp_exchange_kernelILj256ELj4ELj32E18ScatterToStripedOpiEvPT3_j,comdat
	.protected	_Z20warp_exchange_kernelILj256ELj4ELj32E18ScatterToStripedOpiEvPT3_j ; -- Begin function _Z20warp_exchange_kernelILj256ELj4ELj32E18ScatterToStripedOpiEvPT3_j
	.globl	_Z20warp_exchange_kernelILj256ELj4ELj32E18ScatterToStripedOpiEvPT3_j
	.p2align	8
	.type	_Z20warp_exchange_kernelILj256ELj4ELj32E18ScatterToStripedOpiEvPT3_j,@function
_Z20warp_exchange_kernelILj256ELj4ELj32E18ScatterToStripedOpiEvPT3_j: ; @_Z20warp_exchange_kernelILj256ELj4ELj32E18ScatterToStripedOpiEvPT3_j
; %bb.0:
	s_load_dword s3, s[0:1], 0x8
	v_lshlrev_b32_e32 v2, 2, v0
	v_or_b32_e32 v7, 1, v2
	v_or_b32_e32 v4, 2, v2
	;; [unrolled: 1-line block ×3, first 2 shown]
	s_waitcnt lgkmcnt(0)
	s_cmp_eq_u32 s3, 0
	s_cbranch_scc1 .LBB31_4
; %bb.1:
	v_lshlrev_b32_e32 v0, 4, v0
	v_and_b32_e32 v1, 0x7c, v2
	v_and_b32_e32 v6, 0xe00, v0
	v_mbcnt_lo_u32_b32 v0, -1, 0
	v_xor_b32_e32 v3, 0x7c, v1
	v_mbcnt_hi_u32_b32 v8, -1, v0
	v_lshl_or_b32 v0, v3, 2, v6
	v_and_b32_e32 v3, 31, v8
	v_lshl_or_b32 v1, v1, 2, v6
	v_lshl_or_b32 v3, v3, 2, v6
	v_mov_b32_e32 v6, v2
.LBB31_2:                               ; =>This Inner Loop Header: Depth=1
	s_waitcnt lgkmcnt(1)
	ds_write_b32 v0, v6
	ds_write_b32 v1, v7 offset:4
	s_waitcnt lgkmcnt(2)
	ds_write_b32 v0, v4 offset:8
	ds_write_b32 v1, v5 offset:12
	; wave barrier
	ds_read2_b32 v[6:7], v3 offset1:32
	ds_read2_b32 v[4:5], v3 offset0:64 offset1:96
	s_add_i32 s3, s3, -1
	s_cmp_lg_u32 s3, 0
	; wave barrier
	s_cbranch_scc1 .LBB31_2
; %bb.3:
	s_waitcnt lgkmcnt(0)
	v_mov_b32_e32 v8, v4
	v_mov_b32_e32 v9, v5
	s_branch .LBB31_5
.LBB31_4:
	v_mov_b32_e32 v3, v7
	v_mov_b64_e32 v[8:9], v[4:5]
	v_mov_b64_e32 v[6:7], v[2:3]
.LBB31_5:
	s_load_dwordx2 s[0:1], s[0:1], 0x0
	v_lshl_or_b32 v0, s2, 10, v2
	v_mov_b32_e32 v1, 0
	s_waitcnt lgkmcnt(0)
	v_lshl_add_u64 v[0:1], v[0:1], 2, s[0:1]
	global_store_dwordx4 v[0:1], v[6:9], off
	s_endpgm
	.section	.rodata,"a",@progbits
	.p2align	6, 0x0
	.amdhsa_kernel _Z20warp_exchange_kernelILj256ELj4ELj32E18ScatterToStripedOpiEvPT3_j
		.amdhsa_group_segment_fixed_size 4096
		.amdhsa_private_segment_fixed_size 0
		.amdhsa_kernarg_size 12
		.amdhsa_user_sgpr_count 2
		.amdhsa_user_sgpr_dispatch_ptr 0
		.amdhsa_user_sgpr_queue_ptr 0
		.amdhsa_user_sgpr_kernarg_segment_ptr 1
		.amdhsa_user_sgpr_dispatch_id 0
		.amdhsa_user_sgpr_kernarg_preload_length 0
		.amdhsa_user_sgpr_kernarg_preload_offset 0
		.amdhsa_user_sgpr_private_segment_size 0
		.amdhsa_uses_dynamic_stack 0
		.amdhsa_enable_private_segment 0
		.amdhsa_system_sgpr_workgroup_id_x 1
		.amdhsa_system_sgpr_workgroup_id_y 0
		.amdhsa_system_sgpr_workgroup_id_z 0
		.amdhsa_system_sgpr_workgroup_info 0
		.amdhsa_system_vgpr_workitem_id 0
		.amdhsa_next_free_vgpr 10
		.amdhsa_next_free_sgpr 4
		.amdhsa_accum_offset 12
		.amdhsa_reserve_vcc 0
		.amdhsa_float_round_mode_32 0
		.amdhsa_float_round_mode_16_64 0
		.amdhsa_float_denorm_mode_32 3
		.amdhsa_float_denorm_mode_16_64 3
		.amdhsa_dx10_clamp 1
		.amdhsa_ieee_mode 1
		.amdhsa_fp16_overflow 0
		.amdhsa_tg_split 0
		.amdhsa_exception_fp_ieee_invalid_op 0
		.amdhsa_exception_fp_denorm_src 0
		.amdhsa_exception_fp_ieee_div_zero 0
		.amdhsa_exception_fp_ieee_overflow 0
		.amdhsa_exception_fp_ieee_underflow 0
		.amdhsa_exception_fp_ieee_inexact 0
		.amdhsa_exception_int_div_zero 0
	.end_amdhsa_kernel
	.section	.text._Z20warp_exchange_kernelILj256ELj4ELj32E18ScatterToStripedOpiEvPT3_j,"axG",@progbits,_Z20warp_exchange_kernelILj256ELj4ELj32E18ScatterToStripedOpiEvPT3_j,comdat
.Lfunc_end31:
	.size	_Z20warp_exchange_kernelILj256ELj4ELj32E18ScatterToStripedOpiEvPT3_j, .Lfunc_end31-_Z20warp_exchange_kernelILj256ELj4ELj32E18ScatterToStripedOpiEvPT3_j
                                        ; -- End function
	.section	.AMDGPU.csdata,"",@progbits
; Kernel info:
; codeLenInByte = 252
; NumSgprs: 10
; NumVgprs: 10
; NumAgprs: 0
; TotalNumVgprs: 10
; ScratchSize: 0
; MemoryBound: 0
; FloatMode: 240
; IeeeMode: 1
; LDSByteSize: 4096 bytes/workgroup (compile time only)
; SGPRBlocks: 1
; VGPRBlocks: 1
; NumSGPRsForWavesPerEU: 10
; NumVGPRsForWavesPerEU: 10
; AccumOffset: 12
; Occupancy: 8
; WaveLimiterHint : 0
; COMPUTE_PGM_RSRC2:SCRATCH_EN: 0
; COMPUTE_PGM_RSRC2:USER_SGPR: 2
; COMPUTE_PGM_RSRC2:TRAP_HANDLER: 0
; COMPUTE_PGM_RSRC2:TGID_X_EN: 1
; COMPUTE_PGM_RSRC2:TGID_Y_EN: 0
; COMPUTE_PGM_RSRC2:TGID_Z_EN: 0
; COMPUTE_PGM_RSRC2:TIDIG_COMP_CNT: 0
; COMPUTE_PGM_RSRC3_GFX90A:ACCUM_OFFSET: 2
; COMPUTE_PGM_RSRC3_GFX90A:TG_SPLIT: 0
	.section	.text._Z20warp_exchange_kernelILj256ELj16ELj16E18ScatterToStripedOpiEvPT3_j,"axG",@progbits,_Z20warp_exchange_kernelILj256ELj16ELj16E18ScatterToStripedOpiEvPT3_j,comdat
	.protected	_Z20warp_exchange_kernelILj256ELj16ELj16E18ScatterToStripedOpiEvPT3_j ; -- Begin function _Z20warp_exchange_kernelILj256ELj16ELj16E18ScatterToStripedOpiEvPT3_j
	.globl	_Z20warp_exchange_kernelILj256ELj16ELj16E18ScatterToStripedOpiEvPT3_j
	.p2align	8
	.type	_Z20warp_exchange_kernelILj256ELj16ELj16E18ScatterToStripedOpiEvPT3_j,@function
_Z20warp_exchange_kernelILj256ELj16ELj16E18ScatterToStripedOpiEvPT3_j: ; @_Z20warp_exchange_kernelILj256ELj16ELj16E18ScatterToStripedOpiEvPT3_j
; %bb.0:
	s_load_dword s3, s[0:1], 0x8
	v_lshlrev_b32_e32 v16, 4, v0
	v_or_b32_e32 v17, 1, v16
	v_or_b32_e32 v18, 2, v16
	;; [unrolled: 1-line block ×14, first 2 shown]
	s_waitcnt lgkmcnt(0)
	s_cmp_lg_u32 s3, 0
	v_or_b32_e32 v31, 15, v16
	s_cbranch_scc0 .LBB32_6
; %bb.1:
	v_mbcnt_lo_u32_b32 v3, -1, 0
	v_and_b32_e32 v1, 0xf0, v16
	v_lshlrev_b32_e32 v0, 6, v0
	v_mbcnt_hi_u32_b32 v3, -1, v3
	v_xor_b32_e32 v2, 0xf0, v1
	v_and_b32_e32 v0, 0x3c00, v0
	v_and_b32_e32 v3, 15, v3
	v_lshl_or_b32 v32, v3, 2, v0
	v_lshl_or_b32 v33, v2, 2, v0
	;; [unrolled: 1-line block ×3, first 2 shown]
	v_mov_b32_e32 v8, v16
	v_mov_b32_e32 v9, v17
	;; [unrolled: 1-line block ×16, first 2 shown]
.LBB32_2:                               ; =>This Inner Loop Header: Depth=1
	s_waitcnt lgkmcnt(7)
	ds_write_b32 v33, v8
	ds_write_b32 v34, v9 offset:4
	s_waitcnt lgkmcnt(8)
	ds_write_b32 v33, v10 offset:8
	ds_write_b32 v34, v11 offset:12
	s_waitcnt lgkmcnt(9)
	ds_write_b32 v33, v12 offset:16
	ds_write_b32 v34, v13 offset:20
	s_waitcnt lgkmcnt(10)
	ds_write_b32 v33, v14 offset:24
	ds_write_b32 v34, v15 offset:28
	s_waitcnt lgkmcnt(11)
	ds_write_b32 v33, v4 offset:32
	ds_write_b32 v34, v5 offset:36
	s_waitcnt lgkmcnt(12)
	ds_write_b32 v33, v6 offset:40
	ds_write_b32 v34, v7 offset:44
	s_waitcnt lgkmcnt(13)
	ds_write_b32 v33, v0 offset:48
	ds_write_b32 v34, v1 offset:52
	s_waitcnt lgkmcnt(14)
	ds_write_b32 v33, v2 offset:56
	ds_write_b32 v34, v3 offset:60
	; wave barrier
	ds_read2_b32 v[8:9], v32 offset1:16
	ds_read2_b32 v[10:11], v32 offset0:32 offset1:48
	ds_read2_b32 v[12:13], v32 offset0:64 offset1:80
	;; [unrolled: 1-line block ×7, first 2 shown]
	s_add_i32 s3, s3, -1
	s_cmp_lg_u32 s3, 0
	; wave barrier
	s_cbranch_scc1 .LBB32_2
; %bb.3:
	s_branch .LBB32_5
.LBB32_4:
	s_waitcnt lgkmcnt(6)
	v_mov_b64_e32 v[10:11], v[18:19]
	s_waitcnt lgkmcnt(5)
	v_mov_b64_e32 v[12:13], v[20:21]
	;; [unrolled: 2-line block ×7, first 2 shown]
	v_mov_b64_e32 v[8:9], v[16:17]
.LBB32_5:
	s_load_dwordx2 s[0:1], s[0:1], 0x0
	v_lshl_or_b32 v16, s2, 12, v16
	v_mov_b32_e32 v17, 0
	s_waitcnt lgkmcnt(0)
	v_lshl_add_u64 v[16:17], v[16:17], 2, s[0:1]
	global_store_dwordx4 v[16:17], v[8:11], off
	global_store_dwordx4 v[16:17], v[12:15], off offset:16
	global_store_dwordx4 v[16:17], v[4:7], off offset:32
	;; [unrolled: 1-line block ×3, first 2 shown]
	s_endpgm
.LBB32_6:
                                        ; implicit-def: $vgpr8_vgpr9
                                        ; implicit-def: $vgpr2_vgpr3
                                        ; implicit-def: $vgpr6_vgpr7
                                        ; implicit-def: $vgpr14_vgpr15
	s_cbranch_execnz .LBB32_4
	s_branch .LBB32_5
	.section	.rodata,"a",@progbits
	.p2align	6, 0x0
	.amdhsa_kernel _Z20warp_exchange_kernelILj256ELj16ELj16E18ScatterToStripedOpiEvPT3_j
		.amdhsa_group_segment_fixed_size 16384
		.amdhsa_private_segment_fixed_size 0
		.amdhsa_kernarg_size 12
		.amdhsa_user_sgpr_count 2
		.amdhsa_user_sgpr_dispatch_ptr 0
		.amdhsa_user_sgpr_queue_ptr 0
		.amdhsa_user_sgpr_kernarg_segment_ptr 1
		.amdhsa_user_sgpr_dispatch_id 0
		.amdhsa_user_sgpr_kernarg_preload_length 0
		.amdhsa_user_sgpr_kernarg_preload_offset 0
		.amdhsa_user_sgpr_private_segment_size 0
		.amdhsa_uses_dynamic_stack 0
		.amdhsa_enable_private_segment 0
		.amdhsa_system_sgpr_workgroup_id_x 1
		.amdhsa_system_sgpr_workgroup_id_y 0
		.amdhsa_system_sgpr_workgroup_id_z 0
		.amdhsa_system_sgpr_workgroup_info 0
		.amdhsa_system_vgpr_workitem_id 0
		.amdhsa_next_free_vgpr 35
		.amdhsa_next_free_sgpr 4
		.amdhsa_accum_offset 36
		.amdhsa_reserve_vcc 0
		.amdhsa_float_round_mode_32 0
		.amdhsa_float_round_mode_16_64 0
		.amdhsa_float_denorm_mode_32 3
		.amdhsa_float_denorm_mode_16_64 3
		.amdhsa_dx10_clamp 1
		.amdhsa_ieee_mode 1
		.amdhsa_fp16_overflow 0
		.amdhsa_tg_split 0
		.amdhsa_exception_fp_ieee_invalid_op 0
		.amdhsa_exception_fp_denorm_src 0
		.amdhsa_exception_fp_ieee_div_zero 0
		.amdhsa_exception_fp_ieee_overflow 0
		.amdhsa_exception_fp_ieee_underflow 0
		.amdhsa_exception_fp_ieee_inexact 0
		.amdhsa_exception_int_div_zero 0
	.end_amdhsa_kernel
	.section	.text._Z20warp_exchange_kernelILj256ELj16ELj16E18ScatterToStripedOpiEvPT3_j,"axG",@progbits,_Z20warp_exchange_kernelILj256ELj16ELj16E18ScatterToStripedOpiEvPT3_j,comdat
.Lfunc_end32:
	.size	_Z20warp_exchange_kernelILj256ELj16ELj16E18ScatterToStripedOpiEvPT3_j, .Lfunc_end32-_Z20warp_exchange_kernelILj256ELj16ELj16E18ScatterToStripedOpiEvPT3_j
                                        ; -- End function
	.section	.AMDGPU.csdata,"",@progbits
; Kernel info:
; codeLenInByte = 596
; NumSgprs: 10
; NumVgprs: 35
; NumAgprs: 0
; TotalNumVgprs: 35
; ScratchSize: 0
; MemoryBound: 0
; FloatMode: 240
; IeeeMode: 1
; LDSByteSize: 16384 bytes/workgroup (compile time only)
; SGPRBlocks: 1
; VGPRBlocks: 4
; NumSGPRsForWavesPerEU: 10
; NumVGPRsForWavesPerEU: 35
; AccumOffset: 36
; Occupancy: 4
; WaveLimiterHint : 0
; COMPUTE_PGM_RSRC2:SCRATCH_EN: 0
; COMPUTE_PGM_RSRC2:USER_SGPR: 2
; COMPUTE_PGM_RSRC2:TRAP_HANDLER: 0
; COMPUTE_PGM_RSRC2:TGID_X_EN: 1
; COMPUTE_PGM_RSRC2:TGID_Y_EN: 0
; COMPUTE_PGM_RSRC2:TGID_Z_EN: 0
; COMPUTE_PGM_RSRC2:TIDIG_COMP_CNT: 0
; COMPUTE_PGM_RSRC3_GFX90A:ACCUM_OFFSET: 8
; COMPUTE_PGM_RSRC3_GFX90A:TG_SPLIT: 0
	.section	.text._Z20warp_exchange_kernelILj256ELj16ELj32E18ScatterToStripedOpiEvPT3_j,"axG",@progbits,_Z20warp_exchange_kernelILj256ELj16ELj32E18ScatterToStripedOpiEvPT3_j,comdat
	.protected	_Z20warp_exchange_kernelILj256ELj16ELj32E18ScatterToStripedOpiEvPT3_j ; -- Begin function _Z20warp_exchange_kernelILj256ELj16ELj32E18ScatterToStripedOpiEvPT3_j
	.globl	_Z20warp_exchange_kernelILj256ELj16ELj32E18ScatterToStripedOpiEvPT3_j
	.p2align	8
	.type	_Z20warp_exchange_kernelILj256ELj16ELj32E18ScatterToStripedOpiEvPT3_j,@function
_Z20warp_exchange_kernelILj256ELj16ELj32E18ScatterToStripedOpiEvPT3_j: ; @_Z20warp_exchange_kernelILj256ELj16ELj32E18ScatterToStripedOpiEvPT3_j
; %bb.0:
	s_load_dword s3, s[0:1], 0x8
	v_lshlrev_b32_e32 v16, 4, v0
	v_or_b32_e32 v17, 1, v16
	v_or_b32_e32 v18, 2, v16
	;; [unrolled: 1-line block ×14, first 2 shown]
	s_waitcnt lgkmcnt(0)
	s_cmp_lg_u32 s3, 0
	v_or_b32_e32 v31, 15, v16
	s_cbranch_scc0 .LBB33_6
; %bb.1:
	v_mbcnt_lo_u32_b32 v3, -1, 0
	v_lshlrev_b32_e32 v0, 6, v0
	v_mbcnt_hi_u32_b32 v3, -1, v3
	v_and_b32_e32 v1, 0x1f0, v16
	v_and_b32_e32 v0, 0x3800, v0
	;; [unrolled: 1-line block ×3, first 2 shown]
	v_xor_b32_e32 v2, 0x1f0, v1
	v_lshl_or_b32 v32, v3, 2, v0
	v_lshl_or_b32 v33, v2, 2, v0
	v_lshl_or_b32 v34, v1, 2, v0
	v_add_u32_e32 v35, 0x400, v32
	v_mov_b32_e32 v8, v16
	v_mov_b32_e32 v9, v17
	;; [unrolled: 1-line block ×16, first 2 shown]
.LBB33_2:                               ; =>This Inner Loop Header: Depth=1
	s_waitcnt lgkmcnt(7)
	ds_write_b32 v33, v8
	ds_write_b32 v34, v9 offset:4
	s_waitcnt lgkmcnt(8)
	ds_write_b32 v33, v10 offset:8
	ds_write_b32 v34, v11 offset:12
	s_waitcnt lgkmcnt(9)
	ds_write_b32 v33, v12 offset:16
	;; [unrolled: 3-line block ×7, first 2 shown]
	ds_write_b32 v34, v3 offset:60
	; wave barrier
	ds_read2_b32 v[8:9], v32 offset1:32
	ds_read2_b32 v[10:11], v32 offset0:64 offset1:96
	ds_read2_b32 v[12:13], v32 offset0:128 offset1:160
	;; [unrolled: 1-line block ×3, first 2 shown]
	ds_read2_b32 v[4:5], v35 offset1:32
	ds_read2_b32 v[6:7], v35 offset0:64 offset1:96
	ds_read2_b32 v[0:1], v35 offset0:128 offset1:160
	;; [unrolled: 1-line block ×3, first 2 shown]
	s_add_i32 s3, s3, -1
	s_cmp_lg_u32 s3, 0
	; wave barrier
	s_cbranch_scc1 .LBB33_2
; %bb.3:
	s_branch .LBB33_5
.LBB33_4:
	s_waitcnt lgkmcnt(6)
	v_mov_b64_e32 v[10:11], v[18:19]
	s_waitcnt lgkmcnt(5)
	v_mov_b64_e32 v[12:13], v[20:21]
	;; [unrolled: 2-line block ×7, first 2 shown]
	v_mov_b64_e32 v[8:9], v[16:17]
.LBB33_5:
	s_load_dwordx2 s[0:1], s[0:1], 0x0
	v_lshl_or_b32 v16, s2, 12, v16
	v_mov_b32_e32 v17, 0
	s_waitcnt lgkmcnt(0)
	v_lshl_add_u64 v[16:17], v[16:17], 2, s[0:1]
	global_store_dwordx4 v[16:17], v[8:11], off
	global_store_dwordx4 v[16:17], v[12:15], off offset:16
	global_store_dwordx4 v[16:17], v[4:7], off offset:32
	;; [unrolled: 1-line block ×3, first 2 shown]
	s_endpgm
.LBB33_6:
                                        ; implicit-def: $vgpr8_vgpr9
                                        ; implicit-def: $vgpr2_vgpr3
                                        ; implicit-def: $vgpr6_vgpr7
                                        ; implicit-def: $vgpr14_vgpr15
	s_cbranch_execnz .LBB33_4
	s_branch .LBB33_5
	.section	.rodata,"a",@progbits
	.p2align	6, 0x0
	.amdhsa_kernel _Z20warp_exchange_kernelILj256ELj16ELj32E18ScatterToStripedOpiEvPT3_j
		.amdhsa_group_segment_fixed_size 16384
		.amdhsa_private_segment_fixed_size 0
		.amdhsa_kernarg_size 12
		.amdhsa_user_sgpr_count 2
		.amdhsa_user_sgpr_dispatch_ptr 0
		.amdhsa_user_sgpr_queue_ptr 0
		.amdhsa_user_sgpr_kernarg_segment_ptr 1
		.amdhsa_user_sgpr_dispatch_id 0
		.amdhsa_user_sgpr_kernarg_preload_length 0
		.amdhsa_user_sgpr_kernarg_preload_offset 0
		.amdhsa_user_sgpr_private_segment_size 0
		.amdhsa_uses_dynamic_stack 0
		.amdhsa_enable_private_segment 0
		.amdhsa_system_sgpr_workgroup_id_x 1
		.amdhsa_system_sgpr_workgroup_id_y 0
		.amdhsa_system_sgpr_workgroup_id_z 0
		.amdhsa_system_sgpr_workgroup_info 0
		.amdhsa_system_vgpr_workitem_id 0
		.amdhsa_next_free_vgpr 36
		.amdhsa_next_free_sgpr 4
		.amdhsa_accum_offset 36
		.amdhsa_reserve_vcc 0
		.amdhsa_float_round_mode_32 0
		.amdhsa_float_round_mode_16_64 0
		.amdhsa_float_denorm_mode_32 3
		.amdhsa_float_denorm_mode_16_64 3
		.amdhsa_dx10_clamp 1
		.amdhsa_ieee_mode 1
		.amdhsa_fp16_overflow 0
		.amdhsa_tg_split 0
		.amdhsa_exception_fp_ieee_invalid_op 0
		.amdhsa_exception_fp_denorm_src 0
		.amdhsa_exception_fp_ieee_div_zero 0
		.amdhsa_exception_fp_ieee_overflow 0
		.amdhsa_exception_fp_ieee_underflow 0
		.amdhsa_exception_fp_ieee_inexact 0
		.amdhsa_exception_int_div_zero 0
	.end_amdhsa_kernel
	.section	.text._Z20warp_exchange_kernelILj256ELj16ELj32E18ScatterToStripedOpiEvPT3_j,"axG",@progbits,_Z20warp_exchange_kernelILj256ELj16ELj32E18ScatterToStripedOpiEvPT3_j,comdat
.Lfunc_end33:
	.size	_Z20warp_exchange_kernelILj256ELj16ELj32E18ScatterToStripedOpiEvPT3_j, .Lfunc_end33-_Z20warp_exchange_kernelILj256ELj16ELj32E18ScatterToStripedOpiEvPT3_j
                                        ; -- End function
	.section	.AMDGPU.csdata,"",@progbits
; Kernel info:
; codeLenInByte = 604
; NumSgprs: 10
; NumVgprs: 36
; NumAgprs: 0
; TotalNumVgprs: 36
; ScratchSize: 0
; MemoryBound: 0
; FloatMode: 240
; IeeeMode: 1
; LDSByteSize: 16384 bytes/workgroup (compile time only)
; SGPRBlocks: 1
; VGPRBlocks: 4
; NumSGPRsForWavesPerEU: 10
; NumVGPRsForWavesPerEU: 36
; AccumOffset: 36
; Occupancy: 4
; WaveLimiterHint : 0
; COMPUTE_PGM_RSRC2:SCRATCH_EN: 0
; COMPUTE_PGM_RSRC2:USER_SGPR: 2
; COMPUTE_PGM_RSRC2:TRAP_HANDLER: 0
; COMPUTE_PGM_RSRC2:TGID_X_EN: 1
; COMPUTE_PGM_RSRC2:TGID_Y_EN: 0
; COMPUTE_PGM_RSRC2:TGID_Z_EN: 0
; COMPUTE_PGM_RSRC2:TIDIG_COMP_CNT: 0
; COMPUTE_PGM_RSRC3_GFX90A:ACCUM_OFFSET: 8
; COMPUTE_PGM_RSRC3_GFX90A:TG_SPLIT: 0
	.section	.text._Z20warp_exchange_kernelILj256ELj1ELj16EN6common18BlockedToStripedOpEnEvPT3_j,"axG",@progbits,_Z20warp_exchange_kernelILj256ELj1ELj16EN6common18BlockedToStripedOpEnEvPT3_j,comdat
	.protected	_Z20warp_exchange_kernelILj256ELj1ELj16EN6common18BlockedToStripedOpEnEvPT3_j ; -- Begin function _Z20warp_exchange_kernelILj256ELj1ELj16EN6common18BlockedToStripedOpEnEvPT3_j
	.globl	_Z20warp_exchange_kernelILj256ELj1ELj16EN6common18BlockedToStripedOpEnEvPT3_j
	.p2align	8
	.type	_Z20warp_exchange_kernelILj256ELj1ELj16EN6common18BlockedToStripedOpEnEvPT3_j,@function
_Z20warp_exchange_kernelILj256ELj1ELj16EN6common18BlockedToStripedOpEnEvPT3_j: ; @_Z20warp_exchange_kernelILj256ELj1ELj16EN6common18BlockedToStripedOpEnEvPT3_j
; %bb.0:
	s_load_dword s3, s[0:1], 0x8
	v_mov_b32_e32 v1, 0
	v_mov_b64_e32 v[4:5], 0
	s_waitcnt lgkmcnt(0)
	s_cmp_eq_u32 s3, 0
	s_cbranch_scc1 .LBB34_3
; %bb.1:
	v_mbcnt_lo_u32_b32 v3, -1, 0
	v_mbcnt_hi_u32_b32 v3, -1, v3
	v_and_b32_e32 v3, 15, v3
	v_lshlrev_b32_e32 v2, 4, v0
	v_lshlrev_b32_e32 v3, 4, v3
	s_movk_i32 s4, 0xf00
	v_and_or_b32 v6, v2, s4, v3
	v_mov_b64_e32 v[2:3], v[0:1]
.LBB34_2:                               ; =>This Inner Loop Header: Depth=1
	s_waitcnt lgkmcnt(0)
	ds_write_b128 v6, v[2:5]
	; wave barrier
	ds_read_b128 v[2:5], v6
	s_add_i32 s3, s3, -1
	s_cmp_lg_u32 s3, 0
	; wave barrier
	s_cbranch_scc1 .LBB34_2
	s_branch .LBB34_4
.LBB34_3:
	v_mov_b64_e32 v[2:3], v[0:1]
.LBB34_4:
	s_load_dwordx2 s[0:1], s[0:1], 0x0
	v_lshl_or_b32 v0, s2, 8, v0
	v_mov_b32_e32 v1, 0
	s_waitcnt lgkmcnt(0)
	v_lshl_add_u64 v[0:1], v[0:1], 4, s[0:1]
	global_store_dwordx4 v[0:1], v[2:5], off
	s_endpgm
	.section	.rodata,"a",@progbits
	.p2align	6, 0x0
	.amdhsa_kernel _Z20warp_exchange_kernelILj256ELj1ELj16EN6common18BlockedToStripedOpEnEvPT3_j
		.amdhsa_group_segment_fixed_size 4096
		.amdhsa_private_segment_fixed_size 0
		.amdhsa_kernarg_size 12
		.amdhsa_user_sgpr_count 2
		.amdhsa_user_sgpr_dispatch_ptr 0
		.amdhsa_user_sgpr_queue_ptr 0
		.amdhsa_user_sgpr_kernarg_segment_ptr 1
		.amdhsa_user_sgpr_dispatch_id 0
		.amdhsa_user_sgpr_kernarg_preload_length 0
		.amdhsa_user_sgpr_kernarg_preload_offset 0
		.amdhsa_user_sgpr_private_segment_size 0
		.amdhsa_uses_dynamic_stack 0
		.amdhsa_enable_private_segment 0
		.amdhsa_system_sgpr_workgroup_id_x 1
		.amdhsa_system_sgpr_workgroup_id_y 0
		.amdhsa_system_sgpr_workgroup_id_z 0
		.amdhsa_system_sgpr_workgroup_info 0
		.amdhsa_system_vgpr_workitem_id 0
		.amdhsa_next_free_vgpr 7
		.amdhsa_next_free_sgpr 5
		.amdhsa_accum_offset 8
		.amdhsa_reserve_vcc 0
		.amdhsa_float_round_mode_32 0
		.amdhsa_float_round_mode_16_64 0
		.amdhsa_float_denorm_mode_32 3
		.amdhsa_float_denorm_mode_16_64 3
		.amdhsa_dx10_clamp 1
		.amdhsa_ieee_mode 1
		.amdhsa_fp16_overflow 0
		.amdhsa_tg_split 0
		.amdhsa_exception_fp_ieee_invalid_op 0
		.amdhsa_exception_fp_denorm_src 0
		.amdhsa_exception_fp_ieee_div_zero 0
		.amdhsa_exception_fp_ieee_overflow 0
		.amdhsa_exception_fp_ieee_underflow 0
		.amdhsa_exception_fp_ieee_inexact 0
		.amdhsa_exception_int_div_zero 0
	.end_amdhsa_kernel
	.section	.text._Z20warp_exchange_kernelILj256ELj1ELj16EN6common18BlockedToStripedOpEnEvPT3_j,"axG",@progbits,_Z20warp_exchange_kernelILj256ELj1ELj16EN6common18BlockedToStripedOpEnEvPT3_j,comdat
.Lfunc_end34:
	.size	_Z20warp_exchange_kernelILj256ELj1ELj16EN6common18BlockedToStripedOpEnEvPT3_j, .Lfunc_end34-_Z20warp_exchange_kernelILj256ELj1ELj16EN6common18BlockedToStripedOpEnEvPT3_j
                                        ; -- End function
	.section	.AMDGPU.csdata,"",@progbits
; Kernel info:
; codeLenInByte = 156
; NumSgprs: 11
; NumVgprs: 7
; NumAgprs: 0
; TotalNumVgprs: 7
; ScratchSize: 0
; MemoryBound: 0
; FloatMode: 240
; IeeeMode: 1
; LDSByteSize: 4096 bytes/workgroup (compile time only)
; SGPRBlocks: 1
; VGPRBlocks: 0
; NumSGPRsForWavesPerEU: 11
; NumVGPRsForWavesPerEU: 7
; AccumOffset: 8
; Occupancy: 8
; WaveLimiterHint : 0
; COMPUTE_PGM_RSRC2:SCRATCH_EN: 0
; COMPUTE_PGM_RSRC2:USER_SGPR: 2
; COMPUTE_PGM_RSRC2:TRAP_HANDLER: 0
; COMPUTE_PGM_RSRC2:TGID_X_EN: 1
; COMPUTE_PGM_RSRC2:TGID_Y_EN: 0
; COMPUTE_PGM_RSRC2:TGID_Z_EN: 0
; COMPUTE_PGM_RSRC2:TIDIG_COMP_CNT: 0
; COMPUTE_PGM_RSRC3_GFX90A:ACCUM_OFFSET: 1
; COMPUTE_PGM_RSRC3_GFX90A:TG_SPLIT: 0
	.section	.text._Z20warp_exchange_kernelILj256ELj1ELj32EN6common18BlockedToStripedOpEnEvPT3_j,"axG",@progbits,_Z20warp_exchange_kernelILj256ELj1ELj32EN6common18BlockedToStripedOpEnEvPT3_j,comdat
	.protected	_Z20warp_exchange_kernelILj256ELj1ELj32EN6common18BlockedToStripedOpEnEvPT3_j ; -- Begin function _Z20warp_exchange_kernelILj256ELj1ELj32EN6common18BlockedToStripedOpEnEvPT3_j
	.globl	_Z20warp_exchange_kernelILj256ELj1ELj32EN6common18BlockedToStripedOpEnEvPT3_j
	.p2align	8
	.type	_Z20warp_exchange_kernelILj256ELj1ELj32EN6common18BlockedToStripedOpEnEvPT3_j,@function
_Z20warp_exchange_kernelILj256ELj1ELj32EN6common18BlockedToStripedOpEnEvPT3_j: ; @_Z20warp_exchange_kernelILj256ELj1ELj32EN6common18BlockedToStripedOpEnEvPT3_j
; %bb.0:
	s_load_dword s3, s[0:1], 0x8
	v_mov_b32_e32 v1, 0
	v_mov_b64_e32 v[4:5], 0
	s_waitcnt lgkmcnt(0)
	s_cmp_eq_u32 s3, 0
	s_cbranch_scc1 .LBB35_3
; %bb.1:
	v_mbcnt_lo_u32_b32 v3, -1, 0
	v_mbcnt_hi_u32_b32 v3, -1, v3
	v_and_b32_e32 v3, 31, v3
	v_lshlrev_b32_e32 v2, 4, v0
	v_lshlrev_b32_e32 v3, 4, v3
	s_movk_i32 s4, 0xe00
	v_and_or_b32 v6, v2, s4, v3
	v_mov_b64_e32 v[2:3], v[0:1]
.LBB35_2:                               ; =>This Inner Loop Header: Depth=1
	s_waitcnt lgkmcnt(0)
	ds_write_b128 v6, v[2:5]
	; wave barrier
	ds_read_b128 v[2:5], v6
	s_add_i32 s3, s3, -1
	s_cmp_lg_u32 s3, 0
	; wave barrier
	s_cbranch_scc1 .LBB35_2
	s_branch .LBB35_4
.LBB35_3:
	v_mov_b64_e32 v[2:3], v[0:1]
.LBB35_4:
	s_load_dwordx2 s[0:1], s[0:1], 0x0
	v_lshl_or_b32 v0, s2, 8, v0
	v_mov_b32_e32 v1, 0
	s_waitcnt lgkmcnt(0)
	v_lshl_add_u64 v[0:1], v[0:1], 4, s[0:1]
	global_store_dwordx4 v[0:1], v[2:5], off
	s_endpgm
	.section	.rodata,"a",@progbits
	.p2align	6, 0x0
	.amdhsa_kernel _Z20warp_exchange_kernelILj256ELj1ELj32EN6common18BlockedToStripedOpEnEvPT3_j
		.amdhsa_group_segment_fixed_size 4096
		.amdhsa_private_segment_fixed_size 0
		.amdhsa_kernarg_size 12
		.amdhsa_user_sgpr_count 2
		.amdhsa_user_sgpr_dispatch_ptr 0
		.amdhsa_user_sgpr_queue_ptr 0
		.amdhsa_user_sgpr_kernarg_segment_ptr 1
		.amdhsa_user_sgpr_dispatch_id 0
		.amdhsa_user_sgpr_kernarg_preload_length 0
		.amdhsa_user_sgpr_kernarg_preload_offset 0
		.amdhsa_user_sgpr_private_segment_size 0
		.amdhsa_uses_dynamic_stack 0
		.amdhsa_enable_private_segment 0
		.amdhsa_system_sgpr_workgroup_id_x 1
		.amdhsa_system_sgpr_workgroup_id_y 0
		.amdhsa_system_sgpr_workgroup_id_z 0
		.amdhsa_system_sgpr_workgroup_info 0
		.amdhsa_system_vgpr_workitem_id 0
		.amdhsa_next_free_vgpr 7
		.amdhsa_next_free_sgpr 5
		.amdhsa_accum_offset 8
		.amdhsa_reserve_vcc 0
		.amdhsa_float_round_mode_32 0
		.amdhsa_float_round_mode_16_64 0
		.amdhsa_float_denorm_mode_32 3
		.amdhsa_float_denorm_mode_16_64 3
		.amdhsa_dx10_clamp 1
		.amdhsa_ieee_mode 1
		.amdhsa_fp16_overflow 0
		.amdhsa_tg_split 0
		.amdhsa_exception_fp_ieee_invalid_op 0
		.amdhsa_exception_fp_denorm_src 0
		.amdhsa_exception_fp_ieee_div_zero 0
		.amdhsa_exception_fp_ieee_overflow 0
		.amdhsa_exception_fp_ieee_underflow 0
		.amdhsa_exception_fp_ieee_inexact 0
		.amdhsa_exception_int_div_zero 0
	.end_amdhsa_kernel
	.section	.text._Z20warp_exchange_kernelILj256ELj1ELj32EN6common18BlockedToStripedOpEnEvPT3_j,"axG",@progbits,_Z20warp_exchange_kernelILj256ELj1ELj32EN6common18BlockedToStripedOpEnEvPT3_j,comdat
.Lfunc_end35:
	.size	_Z20warp_exchange_kernelILj256ELj1ELj32EN6common18BlockedToStripedOpEnEvPT3_j, .Lfunc_end35-_Z20warp_exchange_kernelILj256ELj1ELj32EN6common18BlockedToStripedOpEnEvPT3_j
                                        ; -- End function
	.section	.AMDGPU.csdata,"",@progbits
; Kernel info:
; codeLenInByte = 156
; NumSgprs: 11
; NumVgprs: 7
; NumAgprs: 0
; TotalNumVgprs: 7
; ScratchSize: 0
; MemoryBound: 0
; FloatMode: 240
; IeeeMode: 1
; LDSByteSize: 4096 bytes/workgroup (compile time only)
; SGPRBlocks: 1
; VGPRBlocks: 0
; NumSGPRsForWavesPerEU: 11
; NumVGPRsForWavesPerEU: 7
; AccumOffset: 8
; Occupancy: 8
; WaveLimiterHint : 0
; COMPUTE_PGM_RSRC2:SCRATCH_EN: 0
; COMPUTE_PGM_RSRC2:USER_SGPR: 2
; COMPUTE_PGM_RSRC2:TRAP_HANDLER: 0
; COMPUTE_PGM_RSRC2:TGID_X_EN: 1
; COMPUTE_PGM_RSRC2:TGID_Y_EN: 0
; COMPUTE_PGM_RSRC2:TGID_Z_EN: 0
; COMPUTE_PGM_RSRC2:TIDIG_COMP_CNT: 0
; COMPUTE_PGM_RSRC3_GFX90A:ACCUM_OFFSET: 1
; COMPUTE_PGM_RSRC3_GFX90A:TG_SPLIT: 0
	.section	.text._Z20warp_exchange_kernelILj256ELj4ELj16EN6common18BlockedToStripedOpEnEvPT3_j,"axG",@progbits,_Z20warp_exchange_kernelILj256ELj4ELj16EN6common18BlockedToStripedOpEnEvPT3_j,comdat
	.protected	_Z20warp_exchange_kernelILj256ELj4ELj16EN6common18BlockedToStripedOpEnEvPT3_j ; -- Begin function _Z20warp_exchange_kernelILj256ELj4ELj16EN6common18BlockedToStripedOpEnEvPT3_j
	.globl	_Z20warp_exchange_kernelILj256ELj4ELj16EN6common18BlockedToStripedOpEnEvPT3_j
	.p2align	8
	.type	_Z20warp_exchange_kernelILj256ELj4ELj16EN6common18BlockedToStripedOpEnEvPT3_j,@function
_Z20warp_exchange_kernelILj256ELj4ELj16EN6common18BlockedToStripedOpEnEvPT3_j: ; @_Z20warp_exchange_kernelILj256ELj4ELj16EN6common18BlockedToStripedOpEnEvPT3_j
; %bb.0:
	s_load_dword s3, s[0:1], 0x8
	v_lshlrev_b32_e32 v18, 2, v0
	v_or_b32_e32 v10, 1, v18
	v_or_b32_e32 v6, 2, v18
	;; [unrolled: 1-line block ×3, first 2 shown]
	s_waitcnt lgkmcnt(0)
	s_cmp_eq_u32 s3, 0
	s_cbranch_scc1 .LBB36_3
; %bb.1:
	v_mbcnt_lo_u32_b32 v1, -1, 0
	v_mbcnt_hi_u32_b32 v1, -1, v1
	v_and_b32_e32 v1, 15, v1
	v_mov_b32_e32 v3, 0
	v_lshlrev_b32_e32 v0, 6, v0
	v_lshlrev_b32_e32 v8, 6, v1
	s_movk_i32 s4, 0x3c00
	v_mov_b64_e32 v[4:5], 0
	v_mov_b32_e32 v19, v3
	v_and_or_b32 v0, v0, s4, v8
	v_mul_i32_i24_e32 v1, 0xffffffd0, v1
	v_mov_b64_e32 v[16:17], 0
	v_mov_b32_e32 v7, v3
	v_mov_b32_e32 v11, v3
	v_add_u32_e32 v1, v0, v1
	v_mov_b64_e32 v[8:9], v[4:5]
	v_mov_b64_e32 v[12:13], v[4:5]
	;; [unrolled: 1-line block ×3, first 2 shown]
.LBB36_2:                               ; =>This Inner Loop Header: Depth=1
	s_waitcnt lgkmcnt(3)
	ds_write_b128 v0, v[14:17]
	s_waitcnt lgkmcnt(3)
	ds_write_b128 v0, v[10:13] offset:16
	s_waitcnt lgkmcnt(3)
	ds_write_b128 v0, v[6:9] offset:32
	;; [unrolled: 2-line block ×3, first 2 shown]
	; wave barrier
	ds_read_b128 v[14:17], v1
	ds_read_b128 v[10:13], v1 offset:256
	ds_read_b128 v[6:9], v1 offset:512
	;; [unrolled: 1-line block ×3, first 2 shown]
	s_add_i32 s3, s3, -1
	s_cmp_lg_u32 s3, 0
	; wave barrier
	s_cbranch_scc1 .LBB36_2
	s_branch .LBB36_4
.LBB36_3:
	v_mov_b32_e32 v19, 0
	v_mov_b64_e32 v[16:17], 0
	v_mov_b64_e32 v[4:5], 0
	v_mov_b32_e32 v11, v19
	v_mov_b32_e32 v7, v19
	v_mov_b32_e32 v3, v19
	v_mov_b64_e32 v[14:15], v[18:19]
	v_mov_b64_e32 v[12:13], v[16:17]
	;; [unrolled: 1-line block ×3, first 2 shown]
.LBB36_4:
	s_load_dwordx2 s[0:1], s[0:1], 0x0
	v_lshl_or_b32 v0, s2, 10, v18
	v_mov_b32_e32 v1, 0
	s_waitcnt lgkmcnt(0)
	v_lshl_add_u64 v[0:1], v[0:1], 4, s[0:1]
	global_store_dwordx4 v[0:1], v[14:17], off
	global_store_dwordx4 v[0:1], v[10:13], off offset:16
	global_store_dwordx4 v[0:1], v[6:9], off offset:32
	;; [unrolled: 1-line block ×3, first 2 shown]
	s_endpgm
	.section	.rodata,"a",@progbits
	.p2align	6, 0x0
	.amdhsa_kernel _Z20warp_exchange_kernelILj256ELj4ELj16EN6common18BlockedToStripedOpEnEvPT3_j
		.amdhsa_group_segment_fixed_size 16384
		.amdhsa_private_segment_fixed_size 0
		.amdhsa_kernarg_size 12
		.amdhsa_user_sgpr_count 2
		.amdhsa_user_sgpr_dispatch_ptr 0
		.amdhsa_user_sgpr_queue_ptr 0
		.amdhsa_user_sgpr_kernarg_segment_ptr 1
		.amdhsa_user_sgpr_dispatch_id 0
		.amdhsa_user_sgpr_kernarg_preload_length 0
		.amdhsa_user_sgpr_kernarg_preload_offset 0
		.amdhsa_user_sgpr_private_segment_size 0
		.amdhsa_uses_dynamic_stack 0
		.amdhsa_enable_private_segment 0
		.amdhsa_system_sgpr_workgroup_id_x 1
		.amdhsa_system_sgpr_workgroup_id_y 0
		.amdhsa_system_sgpr_workgroup_id_z 0
		.amdhsa_system_sgpr_workgroup_info 0
		.amdhsa_system_vgpr_workitem_id 0
		.amdhsa_next_free_vgpr 20
		.amdhsa_next_free_sgpr 5
		.amdhsa_accum_offset 20
		.amdhsa_reserve_vcc 0
		.amdhsa_float_round_mode_32 0
		.amdhsa_float_round_mode_16_64 0
		.amdhsa_float_denorm_mode_32 3
		.amdhsa_float_denorm_mode_16_64 3
		.amdhsa_dx10_clamp 1
		.amdhsa_ieee_mode 1
		.amdhsa_fp16_overflow 0
		.amdhsa_tg_split 0
		.amdhsa_exception_fp_ieee_invalid_op 0
		.amdhsa_exception_fp_denorm_src 0
		.amdhsa_exception_fp_ieee_div_zero 0
		.amdhsa_exception_fp_ieee_overflow 0
		.amdhsa_exception_fp_ieee_underflow 0
		.amdhsa_exception_fp_ieee_inexact 0
		.amdhsa_exception_int_div_zero 0
	.end_amdhsa_kernel
	.section	.text._Z20warp_exchange_kernelILj256ELj4ELj16EN6common18BlockedToStripedOpEnEvPT3_j,"axG",@progbits,_Z20warp_exchange_kernelILj256ELj4ELj16EN6common18BlockedToStripedOpEnEvPT3_j,comdat
.Lfunc_end36:
	.size	_Z20warp_exchange_kernelILj256ELj4ELj16EN6common18BlockedToStripedOpEnEvPT3_j, .Lfunc_end36-_Z20warp_exchange_kernelILj256ELj4ELj16EN6common18BlockedToStripedOpEnEvPT3_j
                                        ; -- End function
	.section	.AMDGPU.csdata,"",@progbits
; Kernel info:
; codeLenInByte = 324
; NumSgprs: 11
; NumVgprs: 20
; NumAgprs: 0
; TotalNumVgprs: 20
; ScratchSize: 0
; MemoryBound: 0
; FloatMode: 240
; IeeeMode: 1
; LDSByteSize: 16384 bytes/workgroup (compile time only)
; SGPRBlocks: 1
; VGPRBlocks: 2
; NumSGPRsForWavesPerEU: 11
; NumVGPRsForWavesPerEU: 20
; AccumOffset: 20
; Occupancy: 4
; WaveLimiterHint : 0
; COMPUTE_PGM_RSRC2:SCRATCH_EN: 0
; COMPUTE_PGM_RSRC2:USER_SGPR: 2
; COMPUTE_PGM_RSRC2:TRAP_HANDLER: 0
; COMPUTE_PGM_RSRC2:TGID_X_EN: 1
; COMPUTE_PGM_RSRC2:TGID_Y_EN: 0
; COMPUTE_PGM_RSRC2:TGID_Z_EN: 0
; COMPUTE_PGM_RSRC2:TIDIG_COMP_CNT: 0
; COMPUTE_PGM_RSRC3_GFX90A:ACCUM_OFFSET: 4
; COMPUTE_PGM_RSRC3_GFX90A:TG_SPLIT: 0
	.section	.text._Z20warp_exchange_kernelILj256ELj4ELj32EN6common18BlockedToStripedOpEnEvPT3_j,"axG",@progbits,_Z20warp_exchange_kernelILj256ELj4ELj32EN6common18BlockedToStripedOpEnEvPT3_j,comdat
	.protected	_Z20warp_exchange_kernelILj256ELj4ELj32EN6common18BlockedToStripedOpEnEvPT3_j ; -- Begin function _Z20warp_exchange_kernelILj256ELj4ELj32EN6common18BlockedToStripedOpEnEvPT3_j
	.globl	_Z20warp_exchange_kernelILj256ELj4ELj32EN6common18BlockedToStripedOpEnEvPT3_j
	.p2align	8
	.type	_Z20warp_exchange_kernelILj256ELj4ELj32EN6common18BlockedToStripedOpEnEvPT3_j,@function
_Z20warp_exchange_kernelILj256ELj4ELj32EN6common18BlockedToStripedOpEnEvPT3_j: ; @_Z20warp_exchange_kernelILj256ELj4ELj32EN6common18BlockedToStripedOpEnEvPT3_j
; %bb.0:
	s_load_dword s3, s[0:1], 0x8
	v_lshlrev_b32_e32 v18, 2, v0
	v_or_b32_e32 v10, 1, v18
	v_or_b32_e32 v6, 2, v18
	;; [unrolled: 1-line block ×3, first 2 shown]
	s_waitcnt lgkmcnt(0)
	s_cmp_eq_u32 s3, 0
	s_cbranch_scc1 .LBB37_3
; %bb.1:
	v_mbcnt_lo_u32_b32 v1, -1, 0
	v_mbcnt_hi_u32_b32 v1, -1, v1
	v_and_b32_e32 v1, 31, v1
	v_mov_b32_e32 v3, 0
	v_lshlrev_b32_e32 v0, 6, v0
	v_lshlrev_b32_e32 v8, 6, v1
	s_movk_i32 s4, 0x3800
	v_mov_b64_e32 v[4:5], 0
	v_mov_b32_e32 v19, v3
	v_and_or_b32 v0, v0, s4, v8
	v_mul_i32_i24_e32 v1, 0xffffffd0, v1
	v_mov_b64_e32 v[16:17], 0
	v_mov_b32_e32 v7, v3
	v_mov_b32_e32 v11, v3
	v_add_u32_e32 v1, v0, v1
	v_mov_b64_e32 v[8:9], v[4:5]
	v_mov_b64_e32 v[12:13], v[4:5]
	v_mov_b64_e32 v[14:15], v[18:19]
.LBB37_2:                               ; =>This Inner Loop Header: Depth=1
	s_waitcnt lgkmcnt(3)
	ds_write_b128 v0, v[14:17]
	s_waitcnt lgkmcnt(3)
	ds_write_b128 v0, v[10:13] offset:16
	s_waitcnt lgkmcnt(3)
	ds_write_b128 v0, v[6:9] offset:32
	;; [unrolled: 2-line block ×3, first 2 shown]
	; wave barrier
	ds_read_b128 v[14:17], v1
	ds_read_b128 v[10:13], v1 offset:512
	ds_read_b128 v[6:9], v1 offset:1024
	ds_read_b128 v[2:5], v1 offset:1536
	s_add_i32 s3, s3, -1
	s_cmp_lg_u32 s3, 0
	; wave barrier
	s_cbranch_scc1 .LBB37_2
	s_branch .LBB37_4
.LBB37_3:
	v_mov_b32_e32 v19, 0
	v_mov_b64_e32 v[16:17], 0
	v_mov_b64_e32 v[4:5], 0
	v_mov_b32_e32 v11, v19
	v_mov_b32_e32 v7, v19
	v_mov_b32_e32 v3, v19
	v_mov_b64_e32 v[14:15], v[18:19]
	v_mov_b64_e32 v[12:13], v[16:17]
	;; [unrolled: 1-line block ×3, first 2 shown]
.LBB37_4:
	s_load_dwordx2 s[0:1], s[0:1], 0x0
	v_lshl_or_b32 v0, s2, 10, v18
	v_mov_b32_e32 v1, 0
	s_waitcnt lgkmcnt(0)
	v_lshl_add_u64 v[0:1], v[0:1], 4, s[0:1]
	global_store_dwordx4 v[0:1], v[14:17], off
	global_store_dwordx4 v[0:1], v[10:13], off offset:16
	global_store_dwordx4 v[0:1], v[6:9], off offset:32
	global_store_dwordx4 v[0:1], v[2:5], off offset:48
	s_endpgm
	.section	.rodata,"a",@progbits
	.p2align	6, 0x0
	.amdhsa_kernel _Z20warp_exchange_kernelILj256ELj4ELj32EN6common18BlockedToStripedOpEnEvPT3_j
		.amdhsa_group_segment_fixed_size 16384
		.amdhsa_private_segment_fixed_size 0
		.amdhsa_kernarg_size 12
		.amdhsa_user_sgpr_count 2
		.amdhsa_user_sgpr_dispatch_ptr 0
		.amdhsa_user_sgpr_queue_ptr 0
		.amdhsa_user_sgpr_kernarg_segment_ptr 1
		.amdhsa_user_sgpr_dispatch_id 0
		.amdhsa_user_sgpr_kernarg_preload_length 0
		.amdhsa_user_sgpr_kernarg_preload_offset 0
		.amdhsa_user_sgpr_private_segment_size 0
		.amdhsa_uses_dynamic_stack 0
		.amdhsa_enable_private_segment 0
		.amdhsa_system_sgpr_workgroup_id_x 1
		.amdhsa_system_sgpr_workgroup_id_y 0
		.amdhsa_system_sgpr_workgroup_id_z 0
		.amdhsa_system_sgpr_workgroup_info 0
		.amdhsa_system_vgpr_workitem_id 0
		.amdhsa_next_free_vgpr 20
		.amdhsa_next_free_sgpr 5
		.amdhsa_accum_offset 20
		.amdhsa_reserve_vcc 0
		.amdhsa_float_round_mode_32 0
		.amdhsa_float_round_mode_16_64 0
		.amdhsa_float_denorm_mode_32 3
		.amdhsa_float_denorm_mode_16_64 3
		.amdhsa_dx10_clamp 1
		.amdhsa_ieee_mode 1
		.amdhsa_fp16_overflow 0
		.amdhsa_tg_split 0
		.amdhsa_exception_fp_ieee_invalid_op 0
		.amdhsa_exception_fp_denorm_src 0
		.amdhsa_exception_fp_ieee_div_zero 0
		.amdhsa_exception_fp_ieee_overflow 0
		.amdhsa_exception_fp_ieee_underflow 0
		.amdhsa_exception_fp_ieee_inexact 0
		.amdhsa_exception_int_div_zero 0
	.end_amdhsa_kernel
	.section	.text._Z20warp_exchange_kernelILj256ELj4ELj32EN6common18BlockedToStripedOpEnEvPT3_j,"axG",@progbits,_Z20warp_exchange_kernelILj256ELj4ELj32EN6common18BlockedToStripedOpEnEvPT3_j,comdat
.Lfunc_end37:
	.size	_Z20warp_exchange_kernelILj256ELj4ELj32EN6common18BlockedToStripedOpEnEvPT3_j, .Lfunc_end37-_Z20warp_exchange_kernelILj256ELj4ELj32EN6common18BlockedToStripedOpEnEvPT3_j
                                        ; -- End function
	.section	.AMDGPU.csdata,"",@progbits
; Kernel info:
; codeLenInByte = 324
; NumSgprs: 11
; NumVgprs: 20
; NumAgprs: 0
; TotalNumVgprs: 20
; ScratchSize: 0
; MemoryBound: 0
; FloatMode: 240
; IeeeMode: 1
; LDSByteSize: 16384 bytes/workgroup (compile time only)
; SGPRBlocks: 1
; VGPRBlocks: 2
; NumSGPRsForWavesPerEU: 11
; NumVGPRsForWavesPerEU: 20
; AccumOffset: 20
; Occupancy: 4
; WaveLimiterHint : 0
; COMPUTE_PGM_RSRC2:SCRATCH_EN: 0
; COMPUTE_PGM_RSRC2:USER_SGPR: 2
; COMPUTE_PGM_RSRC2:TRAP_HANDLER: 0
; COMPUTE_PGM_RSRC2:TGID_X_EN: 1
; COMPUTE_PGM_RSRC2:TGID_Y_EN: 0
; COMPUTE_PGM_RSRC2:TGID_Z_EN: 0
; COMPUTE_PGM_RSRC2:TIDIG_COMP_CNT: 0
; COMPUTE_PGM_RSRC3_GFX90A:ACCUM_OFFSET: 4
; COMPUTE_PGM_RSRC3_GFX90A:TG_SPLIT: 0
	.section	.text._Z20warp_exchange_kernelILj256ELj16ELj16EN6common18BlockedToStripedOpEnEvPT3_j,"axG",@progbits,_Z20warp_exchange_kernelILj256ELj16ELj16EN6common18BlockedToStripedOpEnEvPT3_j,comdat
	.protected	_Z20warp_exchange_kernelILj256ELj16ELj16EN6common18BlockedToStripedOpEnEvPT3_j ; -- Begin function _Z20warp_exchange_kernelILj256ELj16ELj16EN6common18BlockedToStripedOpEnEvPT3_j
	.globl	_Z20warp_exchange_kernelILj256ELj16ELj16EN6common18BlockedToStripedOpEnEvPT3_j
	.p2align	8
	.type	_Z20warp_exchange_kernelILj256ELj16ELj16EN6common18BlockedToStripedOpEnEvPT3_j,@function
_Z20warp_exchange_kernelILj256ELj16ELj16EN6common18BlockedToStripedOpEnEvPT3_j: ; @_Z20warp_exchange_kernelILj256ELj16ELj16EN6common18BlockedToStripedOpEnEvPT3_j
; %bb.0:
	s_load_dword s3, s[0:1], 0x8
	v_lshlrev_b32_e32 v66, 4, v0
	v_or_b32_e32 v58, 1, v66
	v_or_b32_e32 v54, 2, v66
	;; [unrolled: 1-line block ×14, first 2 shown]
	s_waitcnt lgkmcnt(0)
	s_cmp_eq_u32 s3, 0
	v_or_b32_e32 v2, 15, v66
	s_cbranch_scc1 .LBB38_3
; %bb.1:
	v_mbcnt_lo_u32_b32 v1, -1, 0
	v_mbcnt_hi_u32_b32 v1, -1, v1
	v_and_b32_e32 v1, 15, v1
	v_mov_b32_e32 v3, 0
	v_lshlrev_b32_e32 v0, 8, v0
	v_lshlrev_b32_e32 v8, 8, v1
	s_mov_b32 s4, 0xf000
	v_mov_b64_e32 v[4:5], 0
	v_mov_b32_e32 v67, v3
	v_and_or_b32 v0, v0, s4, v8
	v_mul_i32_i24_e32 v1, 0xffffff10, v1
	v_mov_b64_e32 v[64:65], 0
	v_mov_b32_e32 v7, v3
	v_mov_b32_e32 v11, v3
	;; [unrolled: 1-line block ×14, first 2 shown]
	v_add_u32_e32 v1, v0, v1
	v_mov_b64_e32 v[8:9], v[4:5]
	v_mov_b64_e32 v[12:13], v[4:5]
	;; [unrolled: 1-line block ×15, first 2 shown]
.LBB38_2:                               ; =>This Inner Loop Header: Depth=1
	s_waitcnt lgkmcnt(14)
	ds_write_b128 v0, v[62:65]
	ds_write_b128 v0, v[58:61] offset:16
	s_waitcnt lgkmcnt(14)
	ds_write_b128 v0, v[54:57] offset:32
	ds_write_b128 v0, v[50:53] offset:48
	s_waitcnt lgkmcnt(14)
	ds_write_b128 v0, v[46:49] offset:64
	;; [unrolled: 3-line block ×7, first 2 shown]
	ds_write_b128 v0, v[2:5] offset:240
	; wave barrier
	ds_read_b128 v[62:65], v1
	ds_read_b128 v[58:61], v1 offset:256
	ds_read_b128 v[54:57], v1 offset:512
	;; [unrolled: 1-line block ×15, first 2 shown]
	s_add_i32 s3, s3, -1
	s_cmp_lg_u32 s3, 0
	; wave barrier
	s_cbranch_scc1 .LBB38_2
	s_branch .LBB38_4
.LBB38_3:
	v_mov_b32_e32 v67, 0
	v_mov_b64_e32 v[64:65], 0
	v_mov_b64_e32 v[4:5], 0
	v_mov_b32_e32 v59, v67
	v_mov_b32_e32 v55, v67
	;; [unrolled: 1-line block ×15, first 2 shown]
	v_mov_b64_e32 v[62:63], v[66:67]
	v_mov_b64_e32 v[60:61], v[64:65]
	;; [unrolled: 1-line block ×15, first 2 shown]
.LBB38_4:
	s_load_dwordx2 s[0:1], s[0:1], 0x0
	v_lshl_or_b32 v0, s2, 12, v66
	v_mov_b32_e32 v1, 0
	s_waitcnt lgkmcnt(0)
	v_lshl_add_u64 v[0:1], v[0:1], 4, s[0:1]
	global_store_dwordx4 v[0:1], v[62:65], off
	global_store_dwordx4 v[0:1], v[58:61], off offset:16
	global_store_dwordx4 v[0:1], v[54:57], off offset:32
	;; [unrolled: 1-line block ×15, first 2 shown]
	s_endpgm
	.section	.rodata,"a",@progbits
	.p2align	6, 0x0
	.amdhsa_kernel _Z20warp_exchange_kernelILj256ELj16ELj16EN6common18BlockedToStripedOpEnEvPT3_j
		.amdhsa_group_segment_fixed_size 65536
		.amdhsa_private_segment_fixed_size 0
		.amdhsa_kernarg_size 12
		.amdhsa_user_sgpr_count 2
		.amdhsa_user_sgpr_dispatch_ptr 0
		.amdhsa_user_sgpr_queue_ptr 0
		.amdhsa_user_sgpr_kernarg_segment_ptr 1
		.amdhsa_user_sgpr_dispatch_id 0
		.amdhsa_user_sgpr_kernarg_preload_length 0
		.amdhsa_user_sgpr_kernarg_preload_offset 0
		.amdhsa_user_sgpr_private_segment_size 0
		.amdhsa_uses_dynamic_stack 0
		.amdhsa_enable_private_segment 0
		.amdhsa_system_sgpr_workgroup_id_x 1
		.amdhsa_system_sgpr_workgroup_id_y 0
		.amdhsa_system_sgpr_workgroup_id_z 0
		.amdhsa_system_sgpr_workgroup_info 0
		.amdhsa_system_vgpr_workitem_id 0
		.amdhsa_next_free_vgpr 68
		.amdhsa_next_free_sgpr 5
		.amdhsa_accum_offset 68
		.amdhsa_reserve_vcc 0
		.amdhsa_float_round_mode_32 0
		.amdhsa_float_round_mode_16_64 0
		.amdhsa_float_denorm_mode_32 3
		.amdhsa_float_denorm_mode_16_64 3
		.amdhsa_dx10_clamp 1
		.amdhsa_ieee_mode 1
		.amdhsa_fp16_overflow 0
		.amdhsa_tg_split 0
		.amdhsa_exception_fp_ieee_invalid_op 0
		.amdhsa_exception_fp_denorm_src 0
		.amdhsa_exception_fp_ieee_div_zero 0
		.amdhsa_exception_fp_ieee_overflow 0
		.amdhsa_exception_fp_ieee_underflow 0
		.amdhsa_exception_fp_ieee_inexact 0
		.amdhsa_exception_int_div_zero 0
	.end_amdhsa_kernel
	.section	.text._Z20warp_exchange_kernelILj256ELj16ELj16EN6common18BlockedToStripedOpEnEvPT3_j,"axG",@progbits,_Z20warp_exchange_kernelILj256ELj16ELj16EN6common18BlockedToStripedOpEnEvPT3_j,comdat
.Lfunc_end38:
	.size	_Z20warp_exchange_kernelILj256ELj16ELj16EN6common18BlockedToStripedOpEnEvPT3_j, .Lfunc_end38-_Z20warp_exchange_kernelILj256ELj16ELj16EN6common18BlockedToStripedOpEnEvPT3_j
                                        ; -- End function
	.section	.AMDGPU.csdata,"",@progbits
; Kernel info:
; codeLenInByte = 872
; NumSgprs: 11
; NumVgprs: 68
; NumAgprs: 0
; TotalNumVgprs: 68
; ScratchSize: 0
; MemoryBound: 1
; FloatMode: 240
; IeeeMode: 1
; LDSByteSize: 65536 bytes/workgroup (compile time only)
; SGPRBlocks: 1
; VGPRBlocks: 8
; NumSGPRsForWavesPerEU: 11
; NumVGPRsForWavesPerEU: 68
; AccumOffset: 68
; Occupancy: 1
; WaveLimiterHint : 1
; COMPUTE_PGM_RSRC2:SCRATCH_EN: 0
; COMPUTE_PGM_RSRC2:USER_SGPR: 2
; COMPUTE_PGM_RSRC2:TRAP_HANDLER: 0
; COMPUTE_PGM_RSRC2:TGID_X_EN: 1
; COMPUTE_PGM_RSRC2:TGID_Y_EN: 0
; COMPUTE_PGM_RSRC2:TGID_Z_EN: 0
; COMPUTE_PGM_RSRC2:TIDIG_COMP_CNT: 0
; COMPUTE_PGM_RSRC3_GFX90A:ACCUM_OFFSET: 16
; COMPUTE_PGM_RSRC3_GFX90A:TG_SPLIT: 0
	.section	.text._Z20warp_exchange_kernelILj256ELj16ELj32EN6common18BlockedToStripedOpEnEvPT3_j,"axG",@progbits,_Z20warp_exchange_kernelILj256ELj16ELj32EN6common18BlockedToStripedOpEnEvPT3_j,comdat
	.protected	_Z20warp_exchange_kernelILj256ELj16ELj32EN6common18BlockedToStripedOpEnEvPT3_j ; -- Begin function _Z20warp_exchange_kernelILj256ELj16ELj32EN6common18BlockedToStripedOpEnEvPT3_j
	.globl	_Z20warp_exchange_kernelILj256ELj16ELj32EN6common18BlockedToStripedOpEnEvPT3_j
	.p2align	8
	.type	_Z20warp_exchange_kernelILj256ELj16ELj32EN6common18BlockedToStripedOpEnEvPT3_j,@function
_Z20warp_exchange_kernelILj256ELj16ELj32EN6common18BlockedToStripedOpEnEvPT3_j: ; @_Z20warp_exchange_kernelILj256ELj16ELj32EN6common18BlockedToStripedOpEnEvPT3_j
; %bb.0:
	s_load_dword s3, s[0:1], 0x8
	v_lshlrev_b32_e32 v66, 4, v0
	v_or_b32_e32 v58, 1, v66
	v_or_b32_e32 v54, 2, v66
	;; [unrolled: 1-line block ×14, first 2 shown]
	s_waitcnt lgkmcnt(0)
	s_cmp_eq_u32 s3, 0
	v_or_b32_e32 v2, 15, v66
	s_cbranch_scc1 .LBB39_3
; %bb.1:
	v_mbcnt_lo_u32_b32 v1, -1, 0
	v_mbcnt_hi_u32_b32 v1, -1, v1
	v_and_b32_e32 v1, 31, v1
	v_mov_b32_e32 v3, 0
	v_lshlrev_b32_e32 v0, 8, v0
	v_lshlrev_b32_e32 v8, 8, v1
	s_mov_b32 s4, 0xe000
	v_mov_b64_e32 v[4:5], 0
	v_mov_b32_e32 v67, v3
	v_and_or_b32 v0, v0, s4, v8
	v_mul_i32_i24_e32 v1, 0xffffff10, v1
	v_mov_b64_e32 v[64:65], 0
	v_mov_b32_e32 v7, v3
	v_mov_b32_e32 v11, v3
	;; [unrolled: 1-line block ×14, first 2 shown]
	v_add_u32_e32 v1, v0, v1
	v_mov_b64_e32 v[8:9], v[4:5]
	v_mov_b64_e32 v[12:13], v[4:5]
	;; [unrolled: 1-line block ×15, first 2 shown]
.LBB39_2:                               ; =>This Inner Loop Header: Depth=1
	s_waitcnt lgkmcnt(14)
	ds_write_b128 v0, v[62:65]
	ds_write_b128 v0, v[58:61] offset:16
	s_waitcnt lgkmcnt(14)
	ds_write_b128 v0, v[54:57] offset:32
	ds_write_b128 v0, v[50:53] offset:48
	s_waitcnt lgkmcnt(14)
	ds_write_b128 v0, v[46:49] offset:64
	;; [unrolled: 3-line block ×7, first 2 shown]
	ds_write_b128 v0, v[2:5] offset:240
	; wave barrier
	ds_read_b128 v[62:65], v1
	ds_read_b128 v[58:61], v1 offset:512
	ds_read_b128 v[54:57], v1 offset:1024
	;; [unrolled: 1-line block ×15, first 2 shown]
	s_add_i32 s3, s3, -1
	s_cmp_lg_u32 s3, 0
	; wave barrier
	s_cbranch_scc1 .LBB39_2
	s_branch .LBB39_4
.LBB39_3:
	v_mov_b32_e32 v67, 0
	v_mov_b64_e32 v[64:65], 0
	v_mov_b64_e32 v[4:5], 0
	v_mov_b32_e32 v59, v67
	v_mov_b32_e32 v55, v67
	;; [unrolled: 1-line block ×15, first 2 shown]
	v_mov_b64_e32 v[62:63], v[66:67]
	v_mov_b64_e32 v[60:61], v[64:65]
	;; [unrolled: 1-line block ×15, first 2 shown]
.LBB39_4:
	s_load_dwordx2 s[0:1], s[0:1], 0x0
	v_lshl_or_b32 v0, s2, 12, v66
	v_mov_b32_e32 v1, 0
	s_waitcnt lgkmcnt(0)
	v_lshl_add_u64 v[0:1], v[0:1], 4, s[0:1]
	global_store_dwordx4 v[0:1], v[62:65], off
	global_store_dwordx4 v[0:1], v[58:61], off offset:16
	global_store_dwordx4 v[0:1], v[54:57], off offset:32
	;; [unrolled: 1-line block ×15, first 2 shown]
	s_endpgm
	.section	.rodata,"a",@progbits
	.p2align	6, 0x0
	.amdhsa_kernel _Z20warp_exchange_kernelILj256ELj16ELj32EN6common18BlockedToStripedOpEnEvPT3_j
		.amdhsa_group_segment_fixed_size 65536
		.amdhsa_private_segment_fixed_size 0
		.amdhsa_kernarg_size 12
		.amdhsa_user_sgpr_count 2
		.amdhsa_user_sgpr_dispatch_ptr 0
		.amdhsa_user_sgpr_queue_ptr 0
		.amdhsa_user_sgpr_kernarg_segment_ptr 1
		.amdhsa_user_sgpr_dispatch_id 0
		.amdhsa_user_sgpr_kernarg_preload_length 0
		.amdhsa_user_sgpr_kernarg_preload_offset 0
		.amdhsa_user_sgpr_private_segment_size 0
		.amdhsa_uses_dynamic_stack 0
		.amdhsa_enable_private_segment 0
		.amdhsa_system_sgpr_workgroup_id_x 1
		.amdhsa_system_sgpr_workgroup_id_y 0
		.amdhsa_system_sgpr_workgroup_id_z 0
		.amdhsa_system_sgpr_workgroup_info 0
		.amdhsa_system_vgpr_workitem_id 0
		.amdhsa_next_free_vgpr 68
		.amdhsa_next_free_sgpr 5
		.amdhsa_accum_offset 68
		.amdhsa_reserve_vcc 0
		.amdhsa_float_round_mode_32 0
		.amdhsa_float_round_mode_16_64 0
		.amdhsa_float_denorm_mode_32 3
		.amdhsa_float_denorm_mode_16_64 3
		.amdhsa_dx10_clamp 1
		.amdhsa_ieee_mode 1
		.amdhsa_fp16_overflow 0
		.amdhsa_tg_split 0
		.amdhsa_exception_fp_ieee_invalid_op 0
		.amdhsa_exception_fp_denorm_src 0
		.amdhsa_exception_fp_ieee_div_zero 0
		.amdhsa_exception_fp_ieee_overflow 0
		.amdhsa_exception_fp_ieee_underflow 0
		.amdhsa_exception_fp_ieee_inexact 0
		.amdhsa_exception_int_div_zero 0
	.end_amdhsa_kernel
	.section	.text._Z20warp_exchange_kernelILj256ELj16ELj32EN6common18BlockedToStripedOpEnEvPT3_j,"axG",@progbits,_Z20warp_exchange_kernelILj256ELj16ELj32EN6common18BlockedToStripedOpEnEvPT3_j,comdat
.Lfunc_end39:
	.size	_Z20warp_exchange_kernelILj256ELj16ELj32EN6common18BlockedToStripedOpEnEvPT3_j, .Lfunc_end39-_Z20warp_exchange_kernelILj256ELj16ELj32EN6common18BlockedToStripedOpEnEvPT3_j
                                        ; -- End function
	.section	.AMDGPU.csdata,"",@progbits
; Kernel info:
; codeLenInByte = 872
; NumSgprs: 11
; NumVgprs: 68
; NumAgprs: 0
; TotalNumVgprs: 68
; ScratchSize: 0
; MemoryBound: 1
; FloatMode: 240
; IeeeMode: 1
; LDSByteSize: 65536 bytes/workgroup (compile time only)
; SGPRBlocks: 1
; VGPRBlocks: 8
; NumSGPRsForWavesPerEU: 11
; NumVGPRsForWavesPerEU: 68
; AccumOffset: 68
; Occupancy: 1
; WaveLimiterHint : 1
; COMPUTE_PGM_RSRC2:SCRATCH_EN: 0
; COMPUTE_PGM_RSRC2:USER_SGPR: 2
; COMPUTE_PGM_RSRC2:TRAP_HANDLER: 0
; COMPUTE_PGM_RSRC2:TGID_X_EN: 1
; COMPUTE_PGM_RSRC2:TGID_Y_EN: 0
; COMPUTE_PGM_RSRC2:TGID_Z_EN: 0
; COMPUTE_PGM_RSRC2:TIDIG_COMP_CNT: 0
; COMPUTE_PGM_RSRC3_GFX90A:ACCUM_OFFSET: 16
; COMPUTE_PGM_RSRC3_GFX90A:TG_SPLIT: 0
	.section	.text._Z20warp_exchange_kernelILj256ELj1ELj16EN6common18StripedToBlockedOpEnEvPT3_j,"axG",@progbits,_Z20warp_exchange_kernelILj256ELj1ELj16EN6common18StripedToBlockedOpEnEvPT3_j,comdat
	.protected	_Z20warp_exchange_kernelILj256ELj1ELj16EN6common18StripedToBlockedOpEnEvPT3_j ; -- Begin function _Z20warp_exchange_kernelILj256ELj1ELj16EN6common18StripedToBlockedOpEnEvPT3_j
	.globl	_Z20warp_exchange_kernelILj256ELj1ELj16EN6common18StripedToBlockedOpEnEvPT3_j
	.p2align	8
	.type	_Z20warp_exchange_kernelILj256ELj1ELj16EN6common18StripedToBlockedOpEnEvPT3_j,@function
_Z20warp_exchange_kernelILj256ELj1ELj16EN6common18StripedToBlockedOpEnEvPT3_j: ; @_Z20warp_exchange_kernelILj256ELj1ELj16EN6common18StripedToBlockedOpEnEvPT3_j
; %bb.0:
	s_load_dword s3, s[0:1], 0x8
	v_mov_b32_e32 v1, 0
	v_mov_b64_e32 v[4:5], 0
	s_waitcnt lgkmcnt(0)
	s_cmp_eq_u32 s3, 0
	s_cbranch_scc1 .LBB40_3
; %bb.1:
	v_mbcnt_lo_u32_b32 v3, -1, 0
	v_mbcnt_hi_u32_b32 v3, -1, v3
	v_and_b32_e32 v3, 15, v3
	v_lshlrev_b32_e32 v2, 4, v0
	v_lshlrev_b32_e32 v3, 4, v3
	s_movk_i32 s4, 0xf00
	v_and_or_b32 v6, v2, s4, v3
	v_mov_b64_e32 v[2:3], v[0:1]
.LBB40_2:                               ; =>This Inner Loop Header: Depth=1
	s_waitcnt lgkmcnt(0)
	ds_write_b128 v6, v[2:5]
	; wave barrier
	ds_read_b128 v[2:5], v6
	s_add_i32 s3, s3, -1
	s_cmp_lg_u32 s3, 0
	; wave barrier
	s_cbranch_scc1 .LBB40_2
	s_branch .LBB40_4
.LBB40_3:
	v_mov_b64_e32 v[2:3], v[0:1]
.LBB40_4:
	s_load_dwordx2 s[0:1], s[0:1], 0x0
	v_lshl_or_b32 v0, s2, 8, v0
	v_mov_b32_e32 v1, 0
	s_waitcnt lgkmcnt(0)
	v_lshl_add_u64 v[0:1], v[0:1], 4, s[0:1]
	global_store_dwordx4 v[0:1], v[2:5], off
	s_endpgm
	.section	.rodata,"a",@progbits
	.p2align	6, 0x0
	.amdhsa_kernel _Z20warp_exchange_kernelILj256ELj1ELj16EN6common18StripedToBlockedOpEnEvPT3_j
		.amdhsa_group_segment_fixed_size 4096
		.amdhsa_private_segment_fixed_size 0
		.amdhsa_kernarg_size 12
		.amdhsa_user_sgpr_count 2
		.amdhsa_user_sgpr_dispatch_ptr 0
		.amdhsa_user_sgpr_queue_ptr 0
		.amdhsa_user_sgpr_kernarg_segment_ptr 1
		.amdhsa_user_sgpr_dispatch_id 0
		.amdhsa_user_sgpr_kernarg_preload_length 0
		.amdhsa_user_sgpr_kernarg_preload_offset 0
		.amdhsa_user_sgpr_private_segment_size 0
		.amdhsa_uses_dynamic_stack 0
		.amdhsa_enable_private_segment 0
		.amdhsa_system_sgpr_workgroup_id_x 1
		.amdhsa_system_sgpr_workgroup_id_y 0
		.amdhsa_system_sgpr_workgroup_id_z 0
		.amdhsa_system_sgpr_workgroup_info 0
		.amdhsa_system_vgpr_workitem_id 0
		.amdhsa_next_free_vgpr 7
		.amdhsa_next_free_sgpr 5
		.amdhsa_accum_offset 8
		.amdhsa_reserve_vcc 0
		.amdhsa_float_round_mode_32 0
		.amdhsa_float_round_mode_16_64 0
		.amdhsa_float_denorm_mode_32 3
		.amdhsa_float_denorm_mode_16_64 3
		.amdhsa_dx10_clamp 1
		.amdhsa_ieee_mode 1
		.amdhsa_fp16_overflow 0
		.amdhsa_tg_split 0
		.amdhsa_exception_fp_ieee_invalid_op 0
		.amdhsa_exception_fp_denorm_src 0
		.amdhsa_exception_fp_ieee_div_zero 0
		.amdhsa_exception_fp_ieee_overflow 0
		.amdhsa_exception_fp_ieee_underflow 0
		.amdhsa_exception_fp_ieee_inexact 0
		.amdhsa_exception_int_div_zero 0
	.end_amdhsa_kernel
	.section	.text._Z20warp_exchange_kernelILj256ELj1ELj16EN6common18StripedToBlockedOpEnEvPT3_j,"axG",@progbits,_Z20warp_exchange_kernelILj256ELj1ELj16EN6common18StripedToBlockedOpEnEvPT3_j,comdat
.Lfunc_end40:
	.size	_Z20warp_exchange_kernelILj256ELj1ELj16EN6common18StripedToBlockedOpEnEvPT3_j, .Lfunc_end40-_Z20warp_exchange_kernelILj256ELj1ELj16EN6common18StripedToBlockedOpEnEvPT3_j
                                        ; -- End function
	.section	.AMDGPU.csdata,"",@progbits
; Kernel info:
; codeLenInByte = 156
; NumSgprs: 11
; NumVgprs: 7
; NumAgprs: 0
; TotalNumVgprs: 7
; ScratchSize: 0
; MemoryBound: 0
; FloatMode: 240
; IeeeMode: 1
; LDSByteSize: 4096 bytes/workgroup (compile time only)
; SGPRBlocks: 1
; VGPRBlocks: 0
; NumSGPRsForWavesPerEU: 11
; NumVGPRsForWavesPerEU: 7
; AccumOffset: 8
; Occupancy: 8
; WaveLimiterHint : 0
; COMPUTE_PGM_RSRC2:SCRATCH_EN: 0
; COMPUTE_PGM_RSRC2:USER_SGPR: 2
; COMPUTE_PGM_RSRC2:TRAP_HANDLER: 0
; COMPUTE_PGM_RSRC2:TGID_X_EN: 1
; COMPUTE_PGM_RSRC2:TGID_Y_EN: 0
; COMPUTE_PGM_RSRC2:TGID_Z_EN: 0
; COMPUTE_PGM_RSRC2:TIDIG_COMP_CNT: 0
; COMPUTE_PGM_RSRC3_GFX90A:ACCUM_OFFSET: 1
; COMPUTE_PGM_RSRC3_GFX90A:TG_SPLIT: 0
	.section	.text._Z20warp_exchange_kernelILj256ELj1ELj32EN6common18StripedToBlockedOpEnEvPT3_j,"axG",@progbits,_Z20warp_exchange_kernelILj256ELj1ELj32EN6common18StripedToBlockedOpEnEvPT3_j,comdat
	.protected	_Z20warp_exchange_kernelILj256ELj1ELj32EN6common18StripedToBlockedOpEnEvPT3_j ; -- Begin function _Z20warp_exchange_kernelILj256ELj1ELj32EN6common18StripedToBlockedOpEnEvPT3_j
	.globl	_Z20warp_exchange_kernelILj256ELj1ELj32EN6common18StripedToBlockedOpEnEvPT3_j
	.p2align	8
	.type	_Z20warp_exchange_kernelILj256ELj1ELj32EN6common18StripedToBlockedOpEnEvPT3_j,@function
_Z20warp_exchange_kernelILj256ELj1ELj32EN6common18StripedToBlockedOpEnEvPT3_j: ; @_Z20warp_exchange_kernelILj256ELj1ELj32EN6common18StripedToBlockedOpEnEvPT3_j
; %bb.0:
	s_load_dword s3, s[0:1], 0x8
	v_mov_b32_e32 v1, 0
	v_mov_b64_e32 v[4:5], 0
	s_waitcnt lgkmcnt(0)
	s_cmp_eq_u32 s3, 0
	s_cbranch_scc1 .LBB41_3
; %bb.1:
	v_mbcnt_lo_u32_b32 v3, -1, 0
	v_mbcnt_hi_u32_b32 v3, -1, v3
	v_and_b32_e32 v3, 31, v3
	v_lshlrev_b32_e32 v2, 4, v0
	v_lshlrev_b32_e32 v3, 4, v3
	s_movk_i32 s4, 0xe00
	v_and_or_b32 v6, v2, s4, v3
	v_mov_b64_e32 v[2:3], v[0:1]
.LBB41_2:                               ; =>This Inner Loop Header: Depth=1
	s_waitcnt lgkmcnt(0)
	ds_write_b128 v6, v[2:5]
	; wave barrier
	ds_read_b128 v[2:5], v6
	s_add_i32 s3, s3, -1
	s_cmp_lg_u32 s3, 0
	; wave barrier
	s_cbranch_scc1 .LBB41_2
	s_branch .LBB41_4
.LBB41_3:
	v_mov_b64_e32 v[2:3], v[0:1]
.LBB41_4:
	s_load_dwordx2 s[0:1], s[0:1], 0x0
	v_lshl_or_b32 v0, s2, 8, v0
	v_mov_b32_e32 v1, 0
	s_waitcnt lgkmcnt(0)
	v_lshl_add_u64 v[0:1], v[0:1], 4, s[0:1]
	global_store_dwordx4 v[0:1], v[2:5], off
	s_endpgm
	.section	.rodata,"a",@progbits
	.p2align	6, 0x0
	.amdhsa_kernel _Z20warp_exchange_kernelILj256ELj1ELj32EN6common18StripedToBlockedOpEnEvPT3_j
		.amdhsa_group_segment_fixed_size 4096
		.amdhsa_private_segment_fixed_size 0
		.amdhsa_kernarg_size 12
		.amdhsa_user_sgpr_count 2
		.amdhsa_user_sgpr_dispatch_ptr 0
		.amdhsa_user_sgpr_queue_ptr 0
		.amdhsa_user_sgpr_kernarg_segment_ptr 1
		.amdhsa_user_sgpr_dispatch_id 0
		.amdhsa_user_sgpr_kernarg_preload_length 0
		.amdhsa_user_sgpr_kernarg_preload_offset 0
		.amdhsa_user_sgpr_private_segment_size 0
		.amdhsa_uses_dynamic_stack 0
		.amdhsa_enable_private_segment 0
		.amdhsa_system_sgpr_workgroup_id_x 1
		.amdhsa_system_sgpr_workgroup_id_y 0
		.amdhsa_system_sgpr_workgroup_id_z 0
		.amdhsa_system_sgpr_workgroup_info 0
		.amdhsa_system_vgpr_workitem_id 0
		.amdhsa_next_free_vgpr 7
		.amdhsa_next_free_sgpr 5
		.amdhsa_accum_offset 8
		.amdhsa_reserve_vcc 0
		.amdhsa_float_round_mode_32 0
		.amdhsa_float_round_mode_16_64 0
		.amdhsa_float_denorm_mode_32 3
		.amdhsa_float_denorm_mode_16_64 3
		.amdhsa_dx10_clamp 1
		.amdhsa_ieee_mode 1
		.amdhsa_fp16_overflow 0
		.amdhsa_tg_split 0
		.amdhsa_exception_fp_ieee_invalid_op 0
		.amdhsa_exception_fp_denorm_src 0
		.amdhsa_exception_fp_ieee_div_zero 0
		.amdhsa_exception_fp_ieee_overflow 0
		.amdhsa_exception_fp_ieee_underflow 0
		.amdhsa_exception_fp_ieee_inexact 0
		.amdhsa_exception_int_div_zero 0
	.end_amdhsa_kernel
	.section	.text._Z20warp_exchange_kernelILj256ELj1ELj32EN6common18StripedToBlockedOpEnEvPT3_j,"axG",@progbits,_Z20warp_exchange_kernelILj256ELj1ELj32EN6common18StripedToBlockedOpEnEvPT3_j,comdat
.Lfunc_end41:
	.size	_Z20warp_exchange_kernelILj256ELj1ELj32EN6common18StripedToBlockedOpEnEvPT3_j, .Lfunc_end41-_Z20warp_exchange_kernelILj256ELj1ELj32EN6common18StripedToBlockedOpEnEvPT3_j
                                        ; -- End function
	.section	.AMDGPU.csdata,"",@progbits
; Kernel info:
; codeLenInByte = 156
; NumSgprs: 11
; NumVgprs: 7
; NumAgprs: 0
; TotalNumVgprs: 7
; ScratchSize: 0
; MemoryBound: 0
; FloatMode: 240
; IeeeMode: 1
; LDSByteSize: 4096 bytes/workgroup (compile time only)
; SGPRBlocks: 1
; VGPRBlocks: 0
; NumSGPRsForWavesPerEU: 11
; NumVGPRsForWavesPerEU: 7
; AccumOffset: 8
; Occupancy: 8
; WaveLimiterHint : 0
; COMPUTE_PGM_RSRC2:SCRATCH_EN: 0
; COMPUTE_PGM_RSRC2:USER_SGPR: 2
; COMPUTE_PGM_RSRC2:TRAP_HANDLER: 0
; COMPUTE_PGM_RSRC2:TGID_X_EN: 1
; COMPUTE_PGM_RSRC2:TGID_Y_EN: 0
; COMPUTE_PGM_RSRC2:TGID_Z_EN: 0
; COMPUTE_PGM_RSRC2:TIDIG_COMP_CNT: 0
; COMPUTE_PGM_RSRC3_GFX90A:ACCUM_OFFSET: 1
; COMPUTE_PGM_RSRC3_GFX90A:TG_SPLIT: 0
	.section	.text._Z20warp_exchange_kernelILj256ELj4ELj16EN6common18StripedToBlockedOpEnEvPT3_j,"axG",@progbits,_Z20warp_exchange_kernelILj256ELj4ELj16EN6common18StripedToBlockedOpEnEvPT3_j,comdat
	.protected	_Z20warp_exchange_kernelILj256ELj4ELj16EN6common18StripedToBlockedOpEnEvPT3_j ; -- Begin function _Z20warp_exchange_kernelILj256ELj4ELj16EN6common18StripedToBlockedOpEnEvPT3_j
	.globl	_Z20warp_exchange_kernelILj256ELj4ELj16EN6common18StripedToBlockedOpEnEvPT3_j
	.p2align	8
	.type	_Z20warp_exchange_kernelILj256ELj4ELj16EN6common18StripedToBlockedOpEnEvPT3_j,@function
_Z20warp_exchange_kernelILj256ELj4ELj16EN6common18StripedToBlockedOpEnEvPT3_j: ; @_Z20warp_exchange_kernelILj256ELj4ELj16EN6common18StripedToBlockedOpEnEvPT3_j
; %bb.0:
	s_load_dword s3, s[0:1], 0x8
	v_lshlrev_b32_e32 v18, 2, v0
	v_or_b32_e32 v10, 1, v18
	v_or_b32_e32 v6, 2, v18
	;; [unrolled: 1-line block ×3, first 2 shown]
	s_waitcnt lgkmcnt(0)
	s_cmp_eq_u32 s3, 0
	s_cbranch_scc1 .LBB42_3
; %bb.1:
	v_mbcnt_lo_u32_b32 v1, -1, 0
	v_mbcnt_hi_u32_b32 v1, -1, v1
	v_and_b32_e32 v1, 15, v1
	v_mov_b32_e32 v3, 0
	v_lshlrev_b32_e32 v0, 6, v0
	v_lshlrev_b32_e32 v8, 4, v1
	s_movk_i32 s4, 0x3c00
	v_mov_b64_e32 v[4:5], 0
	v_mov_b32_e32 v19, v3
	v_and_or_b32 v0, v0, s4, v8
	v_mul_u32_u24_e32 v1, 48, v1
	v_mov_b64_e32 v[16:17], 0
	v_mov_b32_e32 v7, v3
	v_mov_b32_e32 v11, v3
	v_add_u32_e32 v1, v0, v1
	v_mov_b64_e32 v[8:9], v[4:5]
	v_mov_b64_e32 v[12:13], v[4:5]
	;; [unrolled: 1-line block ×3, first 2 shown]
.LBB42_2:                               ; =>This Inner Loop Header: Depth=1
	s_waitcnt lgkmcnt(3)
	ds_write_b128 v0, v[14:17]
	s_waitcnt lgkmcnt(3)
	ds_write_b128 v0, v[10:13] offset:256
	s_waitcnt lgkmcnt(3)
	ds_write_b128 v0, v[6:9] offset:512
	;; [unrolled: 2-line block ×3, first 2 shown]
	; wave barrier
	ds_read_b128 v[14:17], v1
	ds_read_b128 v[10:13], v1 offset:16
	ds_read_b128 v[6:9], v1 offset:32
	;; [unrolled: 1-line block ×3, first 2 shown]
	s_add_i32 s3, s3, -1
	s_cmp_lg_u32 s3, 0
	; wave barrier
	s_cbranch_scc1 .LBB42_2
	s_branch .LBB42_4
.LBB42_3:
	v_mov_b32_e32 v19, 0
	v_mov_b64_e32 v[16:17], 0
	v_mov_b64_e32 v[4:5], 0
	v_mov_b32_e32 v11, v19
	v_mov_b32_e32 v7, v19
	;; [unrolled: 1-line block ×3, first 2 shown]
	v_mov_b64_e32 v[14:15], v[18:19]
	v_mov_b64_e32 v[12:13], v[16:17]
	;; [unrolled: 1-line block ×3, first 2 shown]
.LBB42_4:
	s_load_dwordx2 s[0:1], s[0:1], 0x0
	v_lshl_or_b32 v0, s2, 10, v18
	v_mov_b32_e32 v1, 0
	s_waitcnt lgkmcnt(0)
	v_lshl_add_u64 v[0:1], v[0:1], 4, s[0:1]
	global_store_dwordx4 v[0:1], v[14:17], off
	global_store_dwordx4 v[0:1], v[10:13], off offset:16
	global_store_dwordx4 v[0:1], v[6:9], off offset:32
	;; [unrolled: 1-line block ×3, first 2 shown]
	s_endpgm
	.section	.rodata,"a",@progbits
	.p2align	6, 0x0
	.amdhsa_kernel _Z20warp_exchange_kernelILj256ELj4ELj16EN6common18StripedToBlockedOpEnEvPT3_j
		.amdhsa_group_segment_fixed_size 16384
		.amdhsa_private_segment_fixed_size 0
		.amdhsa_kernarg_size 12
		.amdhsa_user_sgpr_count 2
		.amdhsa_user_sgpr_dispatch_ptr 0
		.amdhsa_user_sgpr_queue_ptr 0
		.amdhsa_user_sgpr_kernarg_segment_ptr 1
		.amdhsa_user_sgpr_dispatch_id 0
		.amdhsa_user_sgpr_kernarg_preload_length 0
		.amdhsa_user_sgpr_kernarg_preload_offset 0
		.amdhsa_user_sgpr_private_segment_size 0
		.amdhsa_uses_dynamic_stack 0
		.amdhsa_enable_private_segment 0
		.amdhsa_system_sgpr_workgroup_id_x 1
		.amdhsa_system_sgpr_workgroup_id_y 0
		.amdhsa_system_sgpr_workgroup_id_z 0
		.amdhsa_system_sgpr_workgroup_info 0
		.amdhsa_system_vgpr_workitem_id 0
		.amdhsa_next_free_vgpr 20
		.amdhsa_next_free_sgpr 5
		.amdhsa_accum_offset 20
		.amdhsa_reserve_vcc 0
		.amdhsa_float_round_mode_32 0
		.amdhsa_float_round_mode_16_64 0
		.amdhsa_float_denorm_mode_32 3
		.amdhsa_float_denorm_mode_16_64 3
		.amdhsa_dx10_clamp 1
		.amdhsa_ieee_mode 1
		.amdhsa_fp16_overflow 0
		.amdhsa_tg_split 0
		.amdhsa_exception_fp_ieee_invalid_op 0
		.amdhsa_exception_fp_denorm_src 0
		.amdhsa_exception_fp_ieee_div_zero 0
		.amdhsa_exception_fp_ieee_overflow 0
		.amdhsa_exception_fp_ieee_underflow 0
		.amdhsa_exception_fp_ieee_inexact 0
		.amdhsa_exception_int_div_zero 0
	.end_amdhsa_kernel
	.section	.text._Z20warp_exchange_kernelILj256ELj4ELj16EN6common18StripedToBlockedOpEnEvPT3_j,"axG",@progbits,_Z20warp_exchange_kernelILj256ELj4ELj16EN6common18StripedToBlockedOpEnEvPT3_j,comdat
.Lfunc_end42:
	.size	_Z20warp_exchange_kernelILj256ELj4ELj16EN6common18StripedToBlockedOpEnEvPT3_j, .Lfunc_end42-_Z20warp_exchange_kernelILj256ELj4ELj16EN6common18StripedToBlockedOpEnEvPT3_j
                                        ; -- End function
	.section	.AMDGPU.csdata,"",@progbits
; Kernel info:
; codeLenInByte = 320
; NumSgprs: 11
; NumVgprs: 20
; NumAgprs: 0
; TotalNumVgprs: 20
; ScratchSize: 0
; MemoryBound: 0
; FloatMode: 240
; IeeeMode: 1
; LDSByteSize: 16384 bytes/workgroup (compile time only)
; SGPRBlocks: 1
; VGPRBlocks: 2
; NumSGPRsForWavesPerEU: 11
; NumVGPRsForWavesPerEU: 20
; AccumOffset: 20
; Occupancy: 4
; WaveLimiterHint : 0
; COMPUTE_PGM_RSRC2:SCRATCH_EN: 0
; COMPUTE_PGM_RSRC2:USER_SGPR: 2
; COMPUTE_PGM_RSRC2:TRAP_HANDLER: 0
; COMPUTE_PGM_RSRC2:TGID_X_EN: 1
; COMPUTE_PGM_RSRC2:TGID_Y_EN: 0
; COMPUTE_PGM_RSRC2:TGID_Z_EN: 0
; COMPUTE_PGM_RSRC2:TIDIG_COMP_CNT: 0
; COMPUTE_PGM_RSRC3_GFX90A:ACCUM_OFFSET: 4
; COMPUTE_PGM_RSRC3_GFX90A:TG_SPLIT: 0
	.section	.text._Z20warp_exchange_kernelILj256ELj4ELj32EN6common18StripedToBlockedOpEnEvPT3_j,"axG",@progbits,_Z20warp_exchange_kernelILj256ELj4ELj32EN6common18StripedToBlockedOpEnEvPT3_j,comdat
	.protected	_Z20warp_exchange_kernelILj256ELj4ELj32EN6common18StripedToBlockedOpEnEvPT3_j ; -- Begin function _Z20warp_exchange_kernelILj256ELj4ELj32EN6common18StripedToBlockedOpEnEvPT3_j
	.globl	_Z20warp_exchange_kernelILj256ELj4ELj32EN6common18StripedToBlockedOpEnEvPT3_j
	.p2align	8
	.type	_Z20warp_exchange_kernelILj256ELj4ELj32EN6common18StripedToBlockedOpEnEvPT3_j,@function
_Z20warp_exchange_kernelILj256ELj4ELj32EN6common18StripedToBlockedOpEnEvPT3_j: ; @_Z20warp_exchange_kernelILj256ELj4ELj32EN6common18StripedToBlockedOpEnEvPT3_j
; %bb.0:
	s_load_dword s3, s[0:1], 0x8
	v_lshlrev_b32_e32 v18, 2, v0
	v_or_b32_e32 v10, 1, v18
	v_or_b32_e32 v6, 2, v18
	;; [unrolled: 1-line block ×3, first 2 shown]
	s_waitcnt lgkmcnt(0)
	s_cmp_eq_u32 s3, 0
	s_cbranch_scc1 .LBB43_3
; %bb.1:
	v_mbcnt_lo_u32_b32 v1, -1, 0
	v_mbcnt_hi_u32_b32 v1, -1, v1
	v_and_b32_e32 v1, 31, v1
	v_mov_b32_e32 v3, 0
	v_lshlrev_b32_e32 v0, 6, v0
	v_lshlrev_b32_e32 v8, 4, v1
	s_movk_i32 s4, 0x3800
	v_mov_b64_e32 v[4:5], 0
	v_mov_b32_e32 v19, v3
	v_and_or_b32 v0, v0, s4, v8
	v_mul_u32_u24_e32 v1, 48, v1
	v_mov_b64_e32 v[16:17], 0
	v_mov_b32_e32 v7, v3
	v_mov_b32_e32 v11, v3
	v_add_u32_e32 v1, v0, v1
	v_mov_b64_e32 v[8:9], v[4:5]
	v_mov_b64_e32 v[12:13], v[4:5]
	;; [unrolled: 1-line block ×3, first 2 shown]
.LBB43_2:                               ; =>This Inner Loop Header: Depth=1
	s_waitcnt lgkmcnt(3)
	ds_write_b128 v0, v[14:17]
	s_waitcnt lgkmcnt(3)
	ds_write_b128 v0, v[10:13] offset:512
	s_waitcnt lgkmcnt(3)
	ds_write_b128 v0, v[6:9] offset:1024
	;; [unrolled: 2-line block ×3, first 2 shown]
	; wave barrier
	ds_read_b128 v[14:17], v1
	ds_read_b128 v[10:13], v1 offset:16
	ds_read_b128 v[6:9], v1 offset:32
	;; [unrolled: 1-line block ×3, first 2 shown]
	s_add_i32 s3, s3, -1
	s_cmp_lg_u32 s3, 0
	; wave barrier
	s_cbranch_scc1 .LBB43_2
	s_branch .LBB43_4
.LBB43_3:
	v_mov_b32_e32 v19, 0
	v_mov_b64_e32 v[16:17], 0
	v_mov_b64_e32 v[4:5], 0
	v_mov_b32_e32 v11, v19
	v_mov_b32_e32 v7, v19
	;; [unrolled: 1-line block ×3, first 2 shown]
	v_mov_b64_e32 v[14:15], v[18:19]
	v_mov_b64_e32 v[12:13], v[16:17]
	;; [unrolled: 1-line block ×3, first 2 shown]
.LBB43_4:
	s_load_dwordx2 s[0:1], s[0:1], 0x0
	v_lshl_or_b32 v0, s2, 10, v18
	v_mov_b32_e32 v1, 0
	s_waitcnt lgkmcnt(0)
	v_lshl_add_u64 v[0:1], v[0:1], 4, s[0:1]
	global_store_dwordx4 v[0:1], v[14:17], off
	global_store_dwordx4 v[0:1], v[10:13], off offset:16
	global_store_dwordx4 v[0:1], v[6:9], off offset:32
	;; [unrolled: 1-line block ×3, first 2 shown]
	s_endpgm
	.section	.rodata,"a",@progbits
	.p2align	6, 0x0
	.amdhsa_kernel _Z20warp_exchange_kernelILj256ELj4ELj32EN6common18StripedToBlockedOpEnEvPT3_j
		.amdhsa_group_segment_fixed_size 16384
		.amdhsa_private_segment_fixed_size 0
		.amdhsa_kernarg_size 12
		.amdhsa_user_sgpr_count 2
		.amdhsa_user_sgpr_dispatch_ptr 0
		.amdhsa_user_sgpr_queue_ptr 0
		.amdhsa_user_sgpr_kernarg_segment_ptr 1
		.amdhsa_user_sgpr_dispatch_id 0
		.amdhsa_user_sgpr_kernarg_preload_length 0
		.amdhsa_user_sgpr_kernarg_preload_offset 0
		.amdhsa_user_sgpr_private_segment_size 0
		.amdhsa_uses_dynamic_stack 0
		.amdhsa_enable_private_segment 0
		.amdhsa_system_sgpr_workgroup_id_x 1
		.amdhsa_system_sgpr_workgroup_id_y 0
		.amdhsa_system_sgpr_workgroup_id_z 0
		.amdhsa_system_sgpr_workgroup_info 0
		.amdhsa_system_vgpr_workitem_id 0
		.amdhsa_next_free_vgpr 20
		.amdhsa_next_free_sgpr 5
		.amdhsa_accum_offset 20
		.amdhsa_reserve_vcc 0
		.amdhsa_float_round_mode_32 0
		.amdhsa_float_round_mode_16_64 0
		.amdhsa_float_denorm_mode_32 3
		.amdhsa_float_denorm_mode_16_64 3
		.amdhsa_dx10_clamp 1
		.amdhsa_ieee_mode 1
		.amdhsa_fp16_overflow 0
		.amdhsa_tg_split 0
		.amdhsa_exception_fp_ieee_invalid_op 0
		.amdhsa_exception_fp_denorm_src 0
		.amdhsa_exception_fp_ieee_div_zero 0
		.amdhsa_exception_fp_ieee_overflow 0
		.amdhsa_exception_fp_ieee_underflow 0
		.amdhsa_exception_fp_ieee_inexact 0
		.amdhsa_exception_int_div_zero 0
	.end_amdhsa_kernel
	.section	.text._Z20warp_exchange_kernelILj256ELj4ELj32EN6common18StripedToBlockedOpEnEvPT3_j,"axG",@progbits,_Z20warp_exchange_kernelILj256ELj4ELj32EN6common18StripedToBlockedOpEnEvPT3_j,comdat
.Lfunc_end43:
	.size	_Z20warp_exchange_kernelILj256ELj4ELj32EN6common18StripedToBlockedOpEnEvPT3_j, .Lfunc_end43-_Z20warp_exchange_kernelILj256ELj4ELj32EN6common18StripedToBlockedOpEnEvPT3_j
                                        ; -- End function
	.section	.AMDGPU.csdata,"",@progbits
; Kernel info:
; codeLenInByte = 320
; NumSgprs: 11
; NumVgprs: 20
; NumAgprs: 0
; TotalNumVgprs: 20
; ScratchSize: 0
; MemoryBound: 0
; FloatMode: 240
; IeeeMode: 1
; LDSByteSize: 16384 bytes/workgroup (compile time only)
; SGPRBlocks: 1
; VGPRBlocks: 2
; NumSGPRsForWavesPerEU: 11
; NumVGPRsForWavesPerEU: 20
; AccumOffset: 20
; Occupancy: 4
; WaveLimiterHint : 0
; COMPUTE_PGM_RSRC2:SCRATCH_EN: 0
; COMPUTE_PGM_RSRC2:USER_SGPR: 2
; COMPUTE_PGM_RSRC2:TRAP_HANDLER: 0
; COMPUTE_PGM_RSRC2:TGID_X_EN: 1
; COMPUTE_PGM_RSRC2:TGID_Y_EN: 0
; COMPUTE_PGM_RSRC2:TGID_Z_EN: 0
; COMPUTE_PGM_RSRC2:TIDIG_COMP_CNT: 0
; COMPUTE_PGM_RSRC3_GFX90A:ACCUM_OFFSET: 4
; COMPUTE_PGM_RSRC3_GFX90A:TG_SPLIT: 0
	.section	.text._Z20warp_exchange_kernelILj256ELj16ELj16EN6common18StripedToBlockedOpEnEvPT3_j,"axG",@progbits,_Z20warp_exchange_kernelILj256ELj16ELj16EN6common18StripedToBlockedOpEnEvPT3_j,comdat
	.protected	_Z20warp_exchange_kernelILj256ELj16ELj16EN6common18StripedToBlockedOpEnEvPT3_j ; -- Begin function _Z20warp_exchange_kernelILj256ELj16ELj16EN6common18StripedToBlockedOpEnEvPT3_j
	.globl	_Z20warp_exchange_kernelILj256ELj16ELj16EN6common18StripedToBlockedOpEnEvPT3_j
	.p2align	8
	.type	_Z20warp_exchange_kernelILj256ELj16ELj16EN6common18StripedToBlockedOpEnEvPT3_j,@function
_Z20warp_exchange_kernelILj256ELj16ELj16EN6common18StripedToBlockedOpEnEvPT3_j: ; @_Z20warp_exchange_kernelILj256ELj16ELj16EN6common18StripedToBlockedOpEnEvPT3_j
; %bb.0:
	s_load_dword s3, s[0:1], 0x8
	v_lshlrev_b32_e32 v66, 4, v0
	v_or_b32_e32 v58, 1, v66
	v_or_b32_e32 v46, 2, v66
	;; [unrolled: 1-line block ×14, first 2 shown]
	s_waitcnt lgkmcnt(0)
	s_cmp_eq_u32 s3, 0
	v_or_b32_e32 v2, 15, v66
	s_cbranch_scc1 .LBB44_3
; %bb.1:
	v_mbcnt_lo_u32_b32 v1, -1, 0
	v_mbcnt_hi_u32_b32 v1, -1, v1
	v_and_b32_e32 v1, 15, v1
	v_mov_b32_e32 v3, 0
	v_lshlrev_b32_e32 v0, 8, v0
	v_lshlrev_b32_e32 v8, 4, v1
	s_mov_b32 s4, 0xf000
	v_mov_b64_e32 v[4:5], 0
	v_mov_b32_e32 v67, v3
	v_and_or_b32 v0, v0, s4, v8
	v_mul_u32_u24_e32 v1, 0xf0, v1
	v_mov_b64_e32 v[64:65], 0
	v_mov_b32_e32 v7, v3
	v_mov_b32_e32 v11, v3
	;; [unrolled: 1-line block ×14, first 2 shown]
	v_add_u32_e32 v1, v0, v1
	v_mov_b64_e32 v[8:9], v[4:5]
	v_mov_b64_e32 v[12:13], v[4:5]
	;; [unrolled: 1-line block ×15, first 2 shown]
.LBB44_2:                               ; =>This Inner Loop Header: Depth=1
	s_waitcnt lgkmcnt(14)
	ds_write_b128 v0, v[62:65]
	ds_write_b128 v0, v[58:61] offset:256
	s_waitcnt lgkmcnt(14)
	ds_write_b128 v0, v[46:49] offset:512
	ds_write_b128 v0, v[34:37] offset:768
	s_waitcnt lgkmcnt(14)
	ds_write_b128 v0, v[54:57] offset:1024
	;; [unrolled: 3-line block ×7, first 2 shown]
	ds_write_b128 v0, v[2:5] offset:3840
	; wave barrier
	ds_read_b128 v[62:65], v1
	ds_read_b128 v[58:61], v1 offset:16
	ds_read_b128 v[46:49], v1 offset:32
	;; [unrolled: 1-line block ×15, first 2 shown]
	s_add_i32 s3, s3, -1
	s_cmp_lg_u32 s3, 0
	; wave barrier
	s_cbranch_scc1 .LBB44_2
	s_branch .LBB44_4
.LBB44_3:
	v_mov_b32_e32 v67, 0
	v_mov_b64_e32 v[64:65], 0
	v_mov_b64_e32 v[4:5], 0
	v_mov_b32_e32 v59, v67
	v_mov_b32_e32 v47, v67
	;; [unrolled: 1-line block ×15, first 2 shown]
	v_mov_b64_e32 v[62:63], v[66:67]
	v_mov_b64_e32 v[60:61], v[64:65]
	;; [unrolled: 1-line block ×15, first 2 shown]
.LBB44_4:
	s_load_dwordx2 s[0:1], s[0:1], 0x0
	v_lshl_or_b32 v0, s2, 12, v66
	v_mov_b32_e32 v1, 0
	s_waitcnt lgkmcnt(0)
	v_lshl_add_u64 v[0:1], v[0:1], 4, s[0:1]
	global_store_dwordx4 v[0:1], v[62:65], off
	global_store_dwordx4 v[0:1], v[58:61], off offset:16
	global_store_dwordx4 v[0:1], v[46:49], off offset:32
	;; [unrolled: 1-line block ×15, first 2 shown]
	s_endpgm
	.section	.rodata,"a",@progbits
	.p2align	6, 0x0
	.amdhsa_kernel _Z20warp_exchange_kernelILj256ELj16ELj16EN6common18StripedToBlockedOpEnEvPT3_j
		.amdhsa_group_segment_fixed_size 65536
		.amdhsa_private_segment_fixed_size 0
		.amdhsa_kernarg_size 12
		.amdhsa_user_sgpr_count 2
		.amdhsa_user_sgpr_dispatch_ptr 0
		.amdhsa_user_sgpr_queue_ptr 0
		.amdhsa_user_sgpr_kernarg_segment_ptr 1
		.amdhsa_user_sgpr_dispatch_id 0
		.amdhsa_user_sgpr_kernarg_preload_length 0
		.amdhsa_user_sgpr_kernarg_preload_offset 0
		.amdhsa_user_sgpr_private_segment_size 0
		.amdhsa_uses_dynamic_stack 0
		.amdhsa_enable_private_segment 0
		.amdhsa_system_sgpr_workgroup_id_x 1
		.amdhsa_system_sgpr_workgroup_id_y 0
		.amdhsa_system_sgpr_workgroup_id_z 0
		.amdhsa_system_sgpr_workgroup_info 0
		.amdhsa_system_vgpr_workitem_id 0
		.amdhsa_next_free_vgpr 68
		.amdhsa_next_free_sgpr 5
		.amdhsa_accum_offset 68
		.amdhsa_reserve_vcc 0
		.amdhsa_float_round_mode_32 0
		.amdhsa_float_round_mode_16_64 0
		.amdhsa_float_denorm_mode_32 3
		.amdhsa_float_denorm_mode_16_64 3
		.amdhsa_dx10_clamp 1
		.amdhsa_ieee_mode 1
		.amdhsa_fp16_overflow 0
		.amdhsa_tg_split 0
		.amdhsa_exception_fp_ieee_invalid_op 0
		.amdhsa_exception_fp_denorm_src 0
		.amdhsa_exception_fp_ieee_div_zero 0
		.amdhsa_exception_fp_ieee_overflow 0
		.amdhsa_exception_fp_ieee_underflow 0
		.amdhsa_exception_fp_ieee_inexact 0
		.amdhsa_exception_int_div_zero 0
	.end_amdhsa_kernel
	.section	.text._Z20warp_exchange_kernelILj256ELj16ELj16EN6common18StripedToBlockedOpEnEvPT3_j,"axG",@progbits,_Z20warp_exchange_kernelILj256ELj16ELj16EN6common18StripedToBlockedOpEnEvPT3_j,comdat
.Lfunc_end44:
	.size	_Z20warp_exchange_kernelILj256ELj16ELj16EN6common18StripedToBlockedOpEnEvPT3_j, .Lfunc_end44-_Z20warp_exchange_kernelILj256ELj16ELj16EN6common18StripedToBlockedOpEnEvPT3_j
                                        ; -- End function
	.section	.AMDGPU.csdata,"",@progbits
; Kernel info:
; codeLenInByte = 872
; NumSgprs: 11
; NumVgprs: 68
; NumAgprs: 0
; TotalNumVgprs: 68
; ScratchSize: 0
; MemoryBound: 1
; FloatMode: 240
; IeeeMode: 1
; LDSByteSize: 65536 bytes/workgroup (compile time only)
; SGPRBlocks: 1
; VGPRBlocks: 8
; NumSGPRsForWavesPerEU: 11
; NumVGPRsForWavesPerEU: 68
; AccumOffset: 68
; Occupancy: 1
; WaveLimiterHint : 1
; COMPUTE_PGM_RSRC2:SCRATCH_EN: 0
; COMPUTE_PGM_RSRC2:USER_SGPR: 2
; COMPUTE_PGM_RSRC2:TRAP_HANDLER: 0
; COMPUTE_PGM_RSRC2:TGID_X_EN: 1
; COMPUTE_PGM_RSRC2:TGID_Y_EN: 0
; COMPUTE_PGM_RSRC2:TGID_Z_EN: 0
; COMPUTE_PGM_RSRC2:TIDIG_COMP_CNT: 0
; COMPUTE_PGM_RSRC3_GFX90A:ACCUM_OFFSET: 16
; COMPUTE_PGM_RSRC3_GFX90A:TG_SPLIT: 0
	.section	.text._Z20warp_exchange_kernelILj256ELj16ELj32EN6common18StripedToBlockedOpEnEvPT3_j,"axG",@progbits,_Z20warp_exchange_kernelILj256ELj16ELj32EN6common18StripedToBlockedOpEnEvPT3_j,comdat
	.protected	_Z20warp_exchange_kernelILj256ELj16ELj32EN6common18StripedToBlockedOpEnEvPT3_j ; -- Begin function _Z20warp_exchange_kernelILj256ELj16ELj32EN6common18StripedToBlockedOpEnEvPT3_j
	.globl	_Z20warp_exchange_kernelILj256ELj16ELj32EN6common18StripedToBlockedOpEnEvPT3_j
	.p2align	8
	.type	_Z20warp_exchange_kernelILj256ELj16ELj32EN6common18StripedToBlockedOpEnEvPT3_j,@function
_Z20warp_exchange_kernelILj256ELj16ELj32EN6common18StripedToBlockedOpEnEvPT3_j: ; @_Z20warp_exchange_kernelILj256ELj16ELj32EN6common18StripedToBlockedOpEnEvPT3_j
; %bb.0:
	s_load_dword s3, s[0:1], 0x8
	v_lshlrev_b32_e32 v66, 4, v0
	v_or_b32_e32 v58, 1, v66
	v_or_b32_e32 v46, 2, v66
	v_or_b32_e32 v34, 3, v66
	v_or_b32_e32 v54, 4, v66
	v_or_b32_e32 v50, 5, v66
	v_or_b32_e32 v42, 6, v66
	v_or_b32_e32 v38, 7, v66
	v_or_b32_e32 v30, 8, v66
	v_or_b32_e32 v26, 9, v66
	v_or_b32_e32 v22, 10, v66
	v_or_b32_e32 v18, 11, v66
	v_or_b32_e32 v14, 12, v66
	v_or_b32_e32 v10, 13, v66
	v_or_b32_e32 v6, 14, v66
	s_waitcnt lgkmcnt(0)
	s_cmp_eq_u32 s3, 0
	v_or_b32_e32 v2, 15, v66
	s_cbranch_scc1 .LBB45_3
; %bb.1:
	v_mbcnt_lo_u32_b32 v1, -1, 0
	v_mbcnt_hi_u32_b32 v1, -1, v1
	v_and_b32_e32 v1, 31, v1
	v_mov_b32_e32 v3, 0
	v_lshlrev_b32_e32 v0, 8, v0
	v_lshlrev_b32_e32 v8, 4, v1
	s_mov_b32 s4, 0xe000
	v_mov_b64_e32 v[4:5], 0
	v_mov_b32_e32 v67, v3
	v_and_or_b32 v0, v0, s4, v8
	v_mul_u32_u24_e32 v1, 0xf0, v1
	v_mov_b64_e32 v[64:65], 0
	v_mov_b32_e32 v7, v3
	v_mov_b32_e32 v11, v3
	;; [unrolled: 1-line block ×14, first 2 shown]
	v_add_u32_e32 v1, v0, v1
	v_mov_b64_e32 v[8:9], v[4:5]
	v_mov_b64_e32 v[12:13], v[4:5]
	;; [unrolled: 1-line block ×15, first 2 shown]
.LBB45_2:                               ; =>This Inner Loop Header: Depth=1
	s_waitcnt lgkmcnt(14)
	ds_write_b128 v0, v[62:65]
	ds_write_b128 v0, v[58:61] offset:512
	s_waitcnt lgkmcnt(14)
	ds_write_b128 v0, v[46:49] offset:1024
	ds_write_b128 v0, v[34:37] offset:1536
	s_waitcnt lgkmcnt(14)
	ds_write_b128 v0, v[54:57] offset:2048
	;; [unrolled: 3-line block ×7, first 2 shown]
	ds_write_b128 v0, v[2:5] offset:7680
	; wave barrier
	ds_read_b128 v[62:65], v1
	ds_read_b128 v[58:61], v1 offset:16
	ds_read_b128 v[46:49], v1 offset:32
	;; [unrolled: 1-line block ×15, first 2 shown]
	s_add_i32 s3, s3, -1
	s_cmp_lg_u32 s3, 0
	; wave barrier
	s_cbranch_scc1 .LBB45_2
	s_branch .LBB45_4
.LBB45_3:
	v_mov_b32_e32 v67, 0
	v_mov_b64_e32 v[64:65], 0
	v_mov_b64_e32 v[4:5], 0
	v_mov_b32_e32 v59, v67
	v_mov_b32_e32 v47, v67
	;; [unrolled: 1-line block ×15, first 2 shown]
	v_mov_b64_e32 v[62:63], v[66:67]
	v_mov_b64_e32 v[60:61], v[64:65]
	v_mov_b64_e32 v[48:49], v[64:65]
	v_mov_b64_e32 v[36:37], v[64:65]
	v_mov_b64_e32 v[56:57], v[64:65]
	v_mov_b64_e32 v[52:53], v[64:65]
	v_mov_b64_e32 v[44:45], v[64:65]
	v_mov_b64_e32 v[40:41], v[64:65]
	v_mov_b64_e32 v[32:33], v[64:65]
	v_mov_b64_e32 v[28:29], v[64:65]
	v_mov_b64_e32 v[24:25], v[64:65]
	v_mov_b64_e32 v[20:21], v[64:65]
	v_mov_b64_e32 v[16:17], v[64:65]
	v_mov_b64_e32 v[12:13], v[64:65]
	v_mov_b64_e32 v[8:9], v[64:65]
.LBB45_4:
	s_load_dwordx2 s[0:1], s[0:1], 0x0
	v_lshl_or_b32 v0, s2, 12, v66
	v_mov_b32_e32 v1, 0
	s_waitcnt lgkmcnt(0)
	v_lshl_add_u64 v[0:1], v[0:1], 4, s[0:1]
	global_store_dwordx4 v[0:1], v[62:65], off
	global_store_dwordx4 v[0:1], v[58:61], off offset:16
	global_store_dwordx4 v[0:1], v[46:49], off offset:32
	;; [unrolled: 1-line block ×15, first 2 shown]
	s_endpgm
	.section	.rodata,"a",@progbits
	.p2align	6, 0x0
	.amdhsa_kernel _Z20warp_exchange_kernelILj256ELj16ELj32EN6common18StripedToBlockedOpEnEvPT3_j
		.amdhsa_group_segment_fixed_size 65536
		.amdhsa_private_segment_fixed_size 0
		.amdhsa_kernarg_size 12
		.amdhsa_user_sgpr_count 2
		.amdhsa_user_sgpr_dispatch_ptr 0
		.amdhsa_user_sgpr_queue_ptr 0
		.amdhsa_user_sgpr_kernarg_segment_ptr 1
		.amdhsa_user_sgpr_dispatch_id 0
		.amdhsa_user_sgpr_kernarg_preload_length 0
		.amdhsa_user_sgpr_kernarg_preload_offset 0
		.amdhsa_user_sgpr_private_segment_size 0
		.amdhsa_uses_dynamic_stack 0
		.amdhsa_enable_private_segment 0
		.amdhsa_system_sgpr_workgroup_id_x 1
		.amdhsa_system_sgpr_workgroup_id_y 0
		.amdhsa_system_sgpr_workgroup_id_z 0
		.amdhsa_system_sgpr_workgroup_info 0
		.amdhsa_system_vgpr_workitem_id 0
		.amdhsa_next_free_vgpr 68
		.amdhsa_next_free_sgpr 5
		.amdhsa_accum_offset 68
		.amdhsa_reserve_vcc 0
		.amdhsa_float_round_mode_32 0
		.amdhsa_float_round_mode_16_64 0
		.amdhsa_float_denorm_mode_32 3
		.amdhsa_float_denorm_mode_16_64 3
		.amdhsa_dx10_clamp 1
		.amdhsa_ieee_mode 1
		.amdhsa_fp16_overflow 0
		.amdhsa_tg_split 0
		.amdhsa_exception_fp_ieee_invalid_op 0
		.amdhsa_exception_fp_denorm_src 0
		.amdhsa_exception_fp_ieee_div_zero 0
		.amdhsa_exception_fp_ieee_overflow 0
		.amdhsa_exception_fp_ieee_underflow 0
		.amdhsa_exception_fp_ieee_inexact 0
		.amdhsa_exception_int_div_zero 0
	.end_amdhsa_kernel
	.section	.text._Z20warp_exchange_kernelILj256ELj16ELj32EN6common18StripedToBlockedOpEnEvPT3_j,"axG",@progbits,_Z20warp_exchange_kernelILj256ELj16ELj32EN6common18StripedToBlockedOpEnEvPT3_j,comdat
.Lfunc_end45:
	.size	_Z20warp_exchange_kernelILj256ELj16ELj32EN6common18StripedToBlockedOpEnEvPT3_j, .Lfunc_end45-_Z20warp_exchange_kernelILj256ELj16ELj32EN6common18StripedToBlockedOpEnEvPT3_j
                                        ; -- End function
	.section	.AMDGPU.csdata,"",@progbits
; Kernel info:
; codeLenInByte = 872
; NumSgprs: 11
; NumVgprs: 68
; NumAgprs: 0
; TotalNumVgprs: 68
; ScratchSize: 0
; MemoryBound: 1
; FloatMode: 240
; IeeeMode: 1
; LDSByteSize: 65536 bytes/workgroup (compile time only)
; SGPRBlocks: 1
; VGPRBlocks: 8
; NumSGPRsForWavesPerEU: 11
; NumVGPRsForWavesPerEU: 68
; AccumOffset: 68
; Occupancy: 1
; WaveLimiterHint : 1
; COMPUTE_PGM_RSRC2:SCRATCH_EN: 0
; COMPUTE_PGM_RSRC2:USER_SGPR: 2
; COMPUTE_PGM_RSRC2:TRAP_HANDLER: 0
; COMPUTE_PGM_RSRC2:TGID_X_EN: 1
; COMPUTE_PGM_RSRC2:TGID_Y_EN: 0
; COMPUTE_PGM_RSRC2:TGID_Z_EN: 0
; COMPUTE_PGM_RSRC2:TIDIG_COMP_CNT: 0
; COMPUTE_PGM_RSRC3_GFX90A:ACCUM_OFFSET: 16
; COMPUTE_PGM_RSRC3_GFX90A:TG_SPLIT: 0
	.section	.text._Z20warp_exchange_kernelILj256ELj1ELj16EN6common25BlockedToStripedShuffleOpEnEvPT3_j,"axG",@progbits,_Z20warp_exchange_kernelILj256ELj1ELj16EN6common25BlockedToStripedShuffleOpEnEvPT3_j,comdat
	.protected	_Z20warp_exchange_kernelILj256ELj1ELj16EN6common25BlockedToStripedShuffleOpEnEvPT3_j ; -- Begin function _Z20warp_exchange_kernelILj256ELj1ELj16EN6common25BlockedToStripedShuffleOpEnEvPT3_j
	.globl	_Z20warp_exchange_kernelILj256ELj1ELj16EN6common25BlockedToStripedShuffleOpEnEvPT3_j
	.p2align	8
	.type	_Z20warp_exchange_kernelILj256ELj1ELj16EN6common25BlockedToStripedShuffleOpEnEvPT3_j,@function
_Z20warp_exchange_kernelILj256ELj1ELj16EN6common25BlockedToStripedShuffleOpEnEvPT3_j: ; @_Z20warp_exchange_kernelILj256ELj1ELj16EN6common25BlockedToStripedShuffleOpEnEvPT3_j
; %bb.0:
	s_load_dword s3, s[0:1], 0x8
	v_mov_b32_e32 v5, 0
	s_waitcnt lgkmcnt(0)
	s_cmp_eq_u32 s3, 0
	s_cbranch_scc1 .LBB46_3
; %bb.1:
	v_mbcnt_lo_u32_b32 v1, -1, 0
	v_mbcnt_hi_u32_b32 v1, -1, v1
	v_lshlrev_b32_e32 v1, 2, v1
	v_mov_b32_e32 v2, v0
	v_mov_b32_e32 v3, 0
	;; [unrolled: 1-line block ×3, first 2 shown]
.LBB46_2:                               ; =>This Inner Loop Header: Depth=1
	s_waitcnt lgkmcnt(3)
	ds_bpermute_b32 v2, v1, v2
	s_waitcnt lgkmcnt(3)
	ds_bpermute_b32 v3, v1, v3
	;; [unrolled: 2-line block ×4, first 2 shown]
	s_add_i32 s3, s3, -1
	s_cmp_lg_u32 s3, 0
	; wave barrier
	s_cbranch_scc1 .LBB46_2
	s_branch .LBB46_4
.LBB46_3:
	v_mov_b32_e32 v2, v0
	v_mov_b32_e32 v3, 0
	;; [unrolled: 1-line block ×3, first 2 shown]
.LBB46_4:
	s_load_dwordx2 s[0:1], s[0:1], 0x0
	v_lshl_or_b32 v0, s2, 8, v0
	v_mov_b32_e32 v1, 0
	s_waitcnt lgkmcnt(0)
	v_lshl_add_u64 v[0:1], v[0:1], 4, s[0:1]
	global_store_dwordx4 v[0:1], v[2:5], off
	s_endpgm
	.section	.rodata,"a",@progbits
	.p2align	6, 0x0
	.amdhsa_kernel _Z20warp_exchange_kernelILj256ELj1ELj16EN6common25BlockedToStripedShuffleOpEnEvPT3_j
		.amdhsa_group_segment_fixed_size 0
		.amdhsa_private_segment_fixed_size 0
		.amdhsa_kernarg_size 12
		.amdhsa_user_sgpr_count 2
		.amdhsa_user_sgpr_dispatch_ptr 0
		.amdhsa_user_sgpr_queue_ptr 0
		.amdhsa_user_sgpr_kernarg_segment_ptr 1
		.amdhsa_user_sgpr_dispatch_id 0
		.amdhsa_user_sgpr_kernarg_preload_length 0
		.amdhsa_user_sgpr_kernarg_preload_offset 0
		.amdhsa_user_sgpr_private_segment_size 0
		.amdhsa_uses_dynamic_stack 0
		.amdhsa_enable_private_segment 0
		.amdhsa_system_sgpr_workgroup_id_x 1
		.amdhsa_system_sgpr_workgroup_id_y 0
		.amdhsa_system_sgpr_workgroup_id_z 0
		.amdhsa_system_sgpr_workgroup_info 0
		.amdhsa_system_vgpr_workitem_id 0
		.amdhsa_next_free_vgpr 6
		.amdhsa_next_free_sgpr 4
		.amdhsa_accum_offset 8
		.amdhsa_reserve_vcc 0
		.amdhsa_float_round_mode_32 0
		.amdhsa_float_round_mode_16_64 0
		.amdhsa_float_denorm_mode_32 3
		.amdhsa_float_denorm_mode_16_64 3
		.amdhsa_dx10_clamp 1
		.amdhsa_ieee_mode 1
		.amdhsa_fp16_overflow 0
		.amdhsa_tg_split 0
		.amdhsa_exception_fp_ieee_invalid_op 0
		.amdhsa_exception_fp_denorm_src 0
		.amdhsa_exception_fp_ieee_div_zero 0
		.amdhsa_exception_fp_ieee_overflow 0
		.amdhsa_exception_fp_ieee_underflow 0
		.amdhsa_exception_fp_ieee_inexact 0
		.amdhsa_exception_int_div_zero 0
	.end_amdhsa_kernel
	.section	.text._Z20warp_exchange_kernelILj256ELj1ELj16EN6common25BlockedToStripedShuffleOpEnEvPT3_j,"axG",@progbits,_Z20warp_exchange_kernelILj256ELj1ELj16EN6common25BlockedToStripedShuffleOpEnEvPT3_j,comdat
.Lfunc_end46:
	.size	_Z20warp_exchange_kernelILj256ELj1ELj16EN6common25BlockedToStripedShuffleOpEnEvPT3_j, .Lfunc_end46-_Z20warp_exchange_kernelILj256ELj1ELj16EN6common25BlockedToStripedShuffleOpEnEvPT3_j
                                        ; -- End function
	.section	.AMDGPU.csdata,"",@progbits
; Kernel info:
; codeLenInByte = 176
; NumSgprs: 10
; NumVgprs: 6
; NumAgprs: 0
; TotalNumVgprs: 6
; ScratchSize: 0
; MemoryBound: 0
; FloatMode: 240
; IeeeMode: 1
; LDSByteSize: 0 bytes/workgroup (compile time only)
; SGPRBlocks: 1
; VGPRBlocks: 0
; NumSGPRsForWavesPerEU: 10
; NumVGPRsForWavesPerEU: 6
; AccumOffset: 8
; Occupancy: 8
; WaveLimiterHint : 0
; COMPUTE_PGM_RSRC2:SCRATCH_EN: 0
; COMPUTE_PGM_RSRC2:USER_SGPR: 2
; COMPUTE_PGM_RSRC2:TRAP_HANDLER: 0
; COMPUTE_PGM_RSRC2:TGID_X_EN: 1
; COMPUTE_PGM_RSRC2:TGID_Y_EN: 0
; COMPUTE_PGM_RSRC2:TGID_Z_EN: 0
; COMPUTE_PGM_RSRC2:TIDIG_COMP_CNT: 0
; COMPUTE_PGM_RSRC3_GFX90A:ACCUM_OFFSET: 1
; COMPUTE_PGM_RSRC3_GFX90A:TG_SPLIT: 0
	.section	.text._Z20warp_exchange_kernelILj256ELj1ELj32EN6common25BlockedToStripedShuffleOpEnEvPT3_j,"axG",@progbits,_Z20warp_exchange_kernelILj256ELj1ELj32EN6common25BlockedToStripedShuffleOpEnEvPT3_j,comdat
	.protected	_Z20warp_exchange_kernelILj256ELj1ELj32EN6common25BlockedToStripedShuffleOpEnEvPT3_j ; -- Begin function _Z20warp_exchange_kernelILj256ELj1ELj32EN6common25BlockedToStripedShuffleOpEnEvPT3_j
	.globl	_Z20warp_exchange_kernelILj256ELj1ELj32EN6common25BlockedToStripedShuffleOpEnEvPT3_j
	.p2align	8
	.type	_Z20warp_exchange_kernelILj256ELj1ELj32EN6common25BlockedToStripedShuffleOpEnEvPT3_j,@function
_Z20warp_exchange_kernelILj256ELj1ELj32EN6common25BlockedToStripedShuffleOpEnEvPT3_j: ; @_Z20warp_exchange_kernelILj256ELj1ELj32EN6common25BlockedToStripedShuffleOpEnEvPT3_j
; %bb.0:
	s_load_dword s3, s[0:1], 0x8
	v_mov_b32_e32 v5, 0
	s_waitcnt lgkmcnt(0)
	s_cmp_eq_u32 s3, 0
	s_cbranch_scc1 .LBB47_3
; %bb.1:
	v_mbcnt_lo_u32_b32 v1, -1, 0
	v_mbcnt_hi_u32_b32 v1, -1, v1
	v_lshlrev_b32_e32 v1, 2, v1
	v_mov_b32_e32 v2, v0
	v_mov_b32_e32 v3, 0
	;; [unrolled: 1-line block ×3, first 2 shown]
.LBB47_2:                               ; =>This Inner Loop Header: Depth=1
	s_waitcnt lgkmcnt(3)
	ds_bpermute_b32 v2, v1, v2
	s_waitcnt lgkmcnt(3)
	ds_bpermute_b32 v3, v1, v3
	;; [unrolled: 2-line block ×4, first 2 shown]
	s_add_i32 s3, s3, -1
	s_cmp_lg_u32 s3, 0
	; wave barrier
	s_cbranch_scc1 .LBB47_2
	s_branch .LBB47_4
.LBB47_3:
	v_mov_b32_e32 v2, v0
	v_mov_b32_e32 v3, 0
	;; [unrolled: 1-line block ×3, first 2 shown]
.LBB47_4:
	s_load_dwordx2 s[0:1], s[0:1], 0x0
	v_lshl_or_b32 v0, s2, 8, v0
	v_mov_b32_e32 v1, 0
	s_waitcnt lgkmcnt(0)
	v_lshl_add_u64 v[0:1], v[0:1], 4, s[0:1]
	global_store_dwordx4 v[0:1], v[2:5], off
	s_endpgm
	.section	.rodata,"a",@progbits
	.p2align	6, 0x0
	.amdhsa_kernel _Z20warp_exchange_kernelILj256ELj1ELj32EN6common25BlockedToStripedShuffleOpEnEvPT3_j
		.amdhsa_group_segment_fixed_size 0
		.amdhsa_private_segment_fixed_size 0
		.amdhsa_kernarg_size 12
		.amdhsa_user_sgpr_count 2
		.amdhsa_user_sgpr_dispatch_ptr 0
		.amdhsa_user_sgpr_queue_ptr 0
		.amdhsa_user_sgpr_kernarg_segment_ptr 1
		.amdhsa_user_sgpr_dispatch_id 0
		.amdhsa_user_sgpr_kernarg_preload_length 0
		.amdhsa_user_sgpr_kernarg_preload_offset 0
		.amdhsa_user_sgpr_private_segment_size 0
		.amdhsa_uses_dynamic_stack 0
		.amdhsa_enable_private_segment 0
		.amdhsa_system_sgpr_workgroup_id_x 1
		.amdhsa_system_sgpr_workgroup_id_y 0
		.amdhsa_system_sgpr_workgroup_id_z 0
		.amdhsa_system_sgpr_workgroup_info 0
		.amdhsa_system_vgpr_workitem_id 0
		.amdhsa_next_free_vgpr 6
		.amdhsa_next_free_sgpr 4
		.amdhsa_accum_offset 8
		.amdhsa_reserve_vcc 0
		.amdhsa_float_round_mode_32 0
		.amdhsa_float_round_mode_16_64 0
		.amdhsa_float_denorm_mode_32 3
		.amdhsa_float_denorm_mode_16_64 3
		.amdhsa_dx10_clamp 1
		.amdhsa_ieee_mode 1
		.amdhsa_fp16_overflow 0
		.amdhsa_tg_split 0
		.amdhsa_exception_fp_ieee_invalid_op 0
		.amdhsa_exception_fp_denorm_src 0
		.amdhsa_exception_fp_ieee_div_zero 0
		.amdhsa_exception_fp_ieee_overflow 0
		.amdhsa_exception_fp_ieee_underflow 0
		.amdhsa_exception_fp_ieee_inexact 0
		.amdhsa_exception_int_div_zero 0
	.end_amdhsa_kernel
	.section	.text._Z20warp_exchange_kernelILj256ELj1ELj32EN6common25BlockedToStripedShuffleOpEnEvPT3_j,"axG",@progbits,_Z20warp_exchange_kernelILj256ELj1ELj32EN6common25BlockedToStripedShuffleOpEnEvPT3_j,comdat
.Lfunc_end47:
	.size	_Z20warp_exchange_kernelILj256ELj1ELj32EN6common25BlockedToStripedShuffleOpEnEvPT3_j, .Lfunc_end47-_Z20warp_exchange_kernelILj256ELj1ELj32EN6common25BlockedToStripedShuffleOpEnEvPT3_j
                                        ; -- End function
	.section	.AMDGPU.csdata,"",@progbits
; Kernel info:
; codeLenInByte = 176
; NumSgprs: 10
; NumVgprs: 6
; NumAgprs: 0
; TotalNumVgprs: 6
; ScratchSize: 0
; MemoryBound: 0
; FloatMode: 240
; IeeeMode: 1
; LDSByteSize: 0 bytes/workgroup (compile time only)
; SGPRBlocks: 1
; VGPRBlocks: 0
; NumSGPRsForWavesPerEU: 10
; NumVGPRsForWavesPerEU: 6
; AccumOffset: 8
; Occupancy: 8
; WaveLimiterHint : 0
; COMPUTE_PGM_RSRC2:SCRATCH_EN: 0
; COMPUTE_PGM_RSRC2:USER_SGPR: 2
; COMPUTE_PGM_RSRC2:TRAP_HANDLER: 0
; COMPUTE_PGM_RSRC2:TGID_X_EN: 1
; COMPUTE_PGM_RSRC2:TGID_Y_EN: 0
; COMPUTE_PGM_RSRC2:TGID_Z_EN: 0
; COMPUTE_PGM_RSRC2:TIDIG_COMP_CNT: 0
; COMPUTE_PGM_RSRC3_GFX90A:ACCUM_OFFSET: 1
; COMPUTE_PGM_RSRC3_GFX90A:TG_SPLIT: 0
	.section	.text._Z20warp_exchange_kernelILj256ELj4ELj16EN6common25BlockedToStripedShuffleOpEnEvPT3_j,"axG",@progbits,_Z20warp_exchange_kernelILj256ELj4ELj16EN6common25BlockedToStripedShuffleOpEnEvPT3_j,comdat
	.protected	_Z20warp_exchange_kernelILj256ELj4ELj16EN6common25BlockedToStripedShuffleOpEnEvPT3_j ; -- Begin function _Z20warp_exchange_kernelILj256ELj4ELj16EN6common25BlockedToStripedShuffleOpEnEvPT3_j
	.globl	_Z20warp_exchange_kernelILj256ELj4ELj16EN6common25BlockedToStripedShuffleOpEnEvPT3_j
	.p2align	8
	.type	_Z20warp_exchange_kernelILj256ELj4ELj16EN6common25BlockedToStripedShuffleOpEnEvPT3_j,@function
_Z20warp_exchange_kernelILj256ELj4ELj16EN6common25BlockedToStripedShuffleOpEnEvPT3_j: ; @_Z20warp_exchange_kernelILj256ELj4ELj16EN6common25BlockedToStripedShuffleOpEnEvPT3_j
; %bb.0:
	s_load_dword s3, s[0:1], 0x8
	v_lshlrev_b32_e32 v16, 2, v0
	v_or_b32_e32 v12, 1, v16
	v_or_b32_e32 v8, 2, v16
	;; [unrolled: 1-line block ×3, first 2 shown]
	s_waitcnt lgkmcnt(0)
	s_cmp_eq_u32 s3, 0
	v_mov_b32_e32 v17, 0
	s_cbranch_scc1 .LBB48_4
; %bb.1:
	v_mbcnt_lo_u32_b32 v0, -1, 0
	v_mbcnt_hi_u32_b32 v0, -1, v0
	v_and_b32_e32 v1, 3, v0
	v_add_u32_e32 v5, -1, v0
	v_xor_b32_e32 v7, 2, v1
	v_and_b32_e32 v6, 3, v5
	v_add_u32_e32 v5, -1, v7
	v_lshlrev_b32_e32 v11, 2, v0
	v_and_b32_e32 v9, 3, v5
	v_and_b32_e32 v10, 0x70, v0
	v_add_u32_e32 v5, 12, v0
	v_xor_b32_e32 v18, 32, v11
	v_add_u32_e32 v11, 4, v0
	v_and_or_b32 v5, v5, 15, v10
	v_and_or_b32 v10, v11, 15, v10
	v_lshlrev_b32_e32 v19, 2, v10
	v_lshrrev_b32_e32 v10, 2, v0
	v_bfe_u32 v0, v0, 2, 2
	v_xor_b32_e32 v11, 2, v0
	v_add_u32_e32 v10, -1, v10
	v_add_u32_e32 v13, -1, v11
	v_and_b32_e32 v10, 3, v10
	v_and_b32_e32 v13, 3, v13
	v_mov_b64_e32 v[2:3], 0
	v_lshlrev_b32_e32 v5, 2, v5
	v_cmp_eq_u32_e32 vcc, 1, v1
	v_cmp_eq_u32_e64 s[50:51], 2, v1
	v_cmp_eq_u32_e64 s[4:5], 3, v1
	v_cmp_eq_u32_e64 s[6:7], 1, v6
	v_cmp_eq_u32_e64 s[8:9], 2, v6
	v_cmp_eq_u32_e64 s[10:11], 3, v6
	v_cmp_eq_u32_e64 s[12:13], 1, v7
	v_cmp_eq_u32_e64 s[14:15], 2, v7
	v_cmp_eq_u32_e64 s[16:17], 3, v7
	v_cmp_eq_u32_e64 s[18:19], 1, v9
	v_cmp_eq_u32_e64 s[20:21], 2, v9
	v_cmp_eq_u32_e64 s[22:23], 3, v9
	v_cmp_eq_u32_e64 s[24:25], 1, v0
	v_cmp_eq_u32_e64 s[26:27], 2, v0
	v_cmp_eq_u32_e64 s[28:29], 3, v0
	v_cmp_eq_u32_e64 s[30:31], 1, v10
	v_cmp_eq_u32_e64 s[34:35], 2, v10
	v_cmp_eq_u32_e64 s[36:37], 3, v10
	v_cmp_eq_u32_e64 s[38:39], 1, v11
	v_cmp_eq_u32_e64 s[40:41], 2, v11
	v_cmp_eq_u32_e64 s[42:43], 3, v11
	v_cmp_eq_u32_e64 s[44:45], 1, v13
	v_cmp_eq_u32_e64 s[46:47], 2, v13
	v_cmp_eq_u32_e64 s[48:49], 3, v13
	v_mov_b32_e32 v6, v17
	v_mov_b32_e32 v7, v17
	;; [unrolled: 1-line block ×8, first 2 shown]
	v_mov_b64_e32 v[0:1], v[16:17]
.LBB48_2:                               ; =>This Inner Loop Header: Depth=1
	s_waitcnt lgkmcnt(10)
	v_mov_b32_dpp v13, v13 quad_perm:[3,0,1,2] row_mask:0xf bank_mask:0xf
	s_waitcnt lgkmcnt(8)
	v_mov_b32_dpp v15, v15 quad_perm:[3,0,1,2] row_mask:0xf bank_mask:0xf
	v_mov_b32_dpp v14, v14 quad_perm:[3,0,1,2] row_mask:0xf bank_mask:0xf
	s_waitcnt lgkmcnt(6)
	v_mov_b32_dpp v9, v9 quad_perm:[2,3,0,1] row_mask:0xf bank_mask:0xf
	s_waitcnt lgkmcnt(4)
	v_mov_b32_dpp v11, v11 quad_perm:[2,3,0,1] row_mask:0xf bank_mask:0xf
	v_cndmask_b32_e64 v24, v3, v15, s[6:7]
	v_cndmask_b32_e64 v26, v1, v13, s[6:7]
	v_mov_b32_dpp v12, v12 quad_perm:[3,0,1,2] row_mask:0xf bank_mask:0xf
	v_mov_b32_dpp v10, v10 quad_perm:[2,3,0,1] row_mask:0xf bank_mask:0xf
	s_waitcnt lgkmcnt(2)
	v_mov_b32_dpp v17, v17 quad_perm:[1,2,3,0] row_mask:0xf bank_mask:0xf
	s_waitcnt lgkmcnt(0)
	v_mov_b32_dpp v7, v7 quad_perm:[1,2,3,0] row_mask:0xf bank_mask:0xf
	v_cndmask_b32_e32 v20, v2, v14, vcc
	v_cndmask_b32_e64 v24, v24, v11, s[8:9]
	v_cndmask_b32_e64 v25, v2, v14, s[6:7]
	v_cndmask_b32_e64 v26, v26, v9, s[8:9]
	v_cndmask_b32_e64 v28, v3, v15, s[12:13]
	v_cndmask_b32_e64 v29, v2, v14, s[12:13]
	v_cndmask_b32_e64 v30, v1, v13, s[12:13]
	v_cndmask_b32_e64 v2, v2, v14, s[18:19]
	v_mov_b32_dpp v8, v8 quad_perm:[2,3,0,1] row_mask:0xf bank_mask:0xf
	v_mov_b32_dpp v6, v6 quad_perm:[1,2,3,0] row_mask:0xf bank_mask:0xf
	v_cndmask_b32_e64 v20, v20, v10, s[50:51]
	v_cndmask_b32_e32 v21, v3, v15, vcc
	v_cndmask_b32_e32 v22, v0, v12, vcc
	;; [unrolled: 1-line block ×3, first 2 shown]
	v_cndmask_b32_e64 v24, v24, v7, s[10:11]
	v_cndmask_b32_e64 v25, v25, v10, s[8:9]
	v_cndmask_b32_e64 v26, v26, v17, s[10:11]
	v_cndmask_b32_e64 v27, v0, v12, s[6:7]
	v_cndmask_b32_e64 v28, v28, v11, s[14:15]
	v_cndmask_b32_e64 v29, v29, v10, s[14:15]
	v_cndmask_b32_e64 v30, v30, v9, s[14:15]
	v_cndmask_b32_e64 v31, v0, v12, s[12:13]
	v_cndmask_b32_e64 v3, v3, v15, s[18:19]
	v_cndmask_b32_e64 v2, v2, v10, s[20:21]
	v_cndmask_b32_e64 v1, v1, v13, s[18:19]
	v_cndmask_b32_e64 v0, v0, v12, s[18:19]
	v_mov_b32_dpp v4, v4 quad_perm:[1,2,3,0] row_mask:0xf bank_mask:0xf
	v_cndmask_b32_e64 v20, v20, v6, s[4:5]
	v_cndmask_b32_e64 v22, v22, v8, s[50:51]
	;; [unrolled: 1-line block ×12, first 2 shown]
	v_mov_b32_dpp v6, v26 quad_perm:[1,2,3,0] row_mask:0xf bank_mask:0xf
	v_mov_b32_dpp v8, v24 quad_perm:[1,2,3,0] row_mask:0xf bank_mask:0xf
	v_cndmask_b32_e64 v21, v21, v11, s[50:51]
	v_cndmask_b32_e64 v27, v27, v4, s[10:11]
	;; [unrolled: 1-line block ×4, first 2 shown]
	v_mov_b32_dpp v10, v30 quad_perm:[2,3,0,1] row_mask:0xf bank_mask:0xf
	v_mov_b32_dpp v12, v28 quad_perm:[2,3,0,1] row_mask:0xf bank_mask:0xf
	ds_bpermute_b32 v6, v5, v6
	ds_bpermute_b32 v8, v5, v8
	v_cndmask_b32_e64 v21, v21, v7, s[4:5]
	v_cndmask_b32_e64 v22, v22, v4, s[4:5]
	;; [unrolled: 1-line block ×5, first 2 shown]
	v_mov_b32_dpp v4, v27 quad_perm:[1,2,3,0] row_mask:0xf bank_mask:0xf
	v_mov_b32_dpp v7, v25 quad_perm:[1,2,3,0] row_mask:0xf bank_mask:0xf
	;; [unrolled: 1-line block ×4, first 2 shown]
	ds_bpermute_b32 v10, v18, v10
	ds_bpermute_b32 v12, v18, v12
	v_cndmask_b32_e64 v23, v23, v17, s[4:5]
	v_mov_b32_dpp v9, v31 quad_perm:[2,3,0,1] row_mask:0xf bank_mask:0xf
	v_mov_b32_dpp v11, v29 quad_perm:[2,3,0,1] row_mask:0xf bank_mask:0xf
	ds_bpermute_b32 v4, v5, v4
	ds_bpermute_b32 v7, v5, v7
	;; [unrolled: 1-line block ×4, first 2 shown]
	v_mov_b32_dpp v0, v0 quad_perm:[3,0,1,2] row_mask:0xf bank_mask:0xf
	v_mov_b32_dpp v2, v2 quad_perm:[3,0,1,2] row_mask:0xf bank_mask:0xf
	ds_bpermute_b32 v9, v18, v9
	ds_bpermute_b32 v11, v18, v11
	;; [unrolled: 1-line block ×4, first 2 shown]
	s_waitcnt lgkmcnt(11)
	v_cndmask_b32_e64 v0, v23, v6, s[24:25]
	s_waitcnt lgkmcnt(10)
	v_cndmask_b32_e64 v2, v21, v8, s[24:25]
	;; [unrolled: 2-line block ×5, first 2 shown]
	v_cndmask_b32_e64 v0, v22, v4, s[24:25]
	s_waitcnt lgkmcnt(4)
	v_cndmask_b32_e64 v3, v2, v17, s[28:29]
	v_cndmask_b32_e64 v2, v20, v7, s[24:25]
	;; [unrolled: 1-line block ×15, first 2 shown]
	s_waitcnt lgkmcnt(2)
	v_cndmask_b32_e64 v25, v25, v11, s[34:35]
	v_cndmask_b32_e64 v26, v26, v10, s[34:35]
	;; [unrolled: 1-line block ×14, first 2 shown]
	s_waitcnt lgkmcnt(0)
	v_cndmask_b32_e64 v25, v25, v15, s[36:37]
	v_cndmask_b32_e64 v26, v26, v14, s[36:37]
	;; [unrolled: 1-line block ×13, first 2 shown]
	ds_bpermute_b32 v12, v19, v27
	ds_bpermute_b32 v13, v19, v26
	;; [unrolled: 1-line block ×12, first 2 shown]
	s_add_i32 s3, s3, -1
	s_cmp_eq_u32 s3, 0
	; wave barrier
	s_cbranch_scc0 .LBB48_2
; %bb.3:
	s_waitcnt lgkmcnt(2)
	v_mov_b32_e32 v5, v17
	s_branch .LBB48_5
.LBB48_4:
	v_mov_b64_e32 v[6:7], 0
	v_mov_b64_e32 v[2:3], 0
	v_mov_b32_e32 v13, v17
	v_mov_b32_e32 v9, v17
	;; [unrolled: 1-line block ×3, first 2 shown]
	v_mov_b64_e32 v[0:1], v[16:17]
	v_mov_b64_e32 v[14:15], 0
	;; [unrolled: 1-line block ×3, first 2 shown]
.LBB48_5:
	s_load_dwordx2 s[0:1], s[0:1], 0x0
	v_lshl_or_b32 v16, s2, 10, v16
	v_mov_b32_e32 v17, 0
	s_waitcnt lgkmcnt(0)
	v_lshl_add_u64 v[16:17], v[16:17], 4, s[0:1]
	global_store_dwordx4 v[16:17], v[0:3], off
	global_store_dwordx4 v[16:17], v[12:15], off offset:16
	global_store_dwordx4 v[16:17], v[8:11], off offset:32
	;; [unrolled: 1-line block ×3, first 2 shown]
	s_endpgm
	.section	.rodata,"a",@progbits
	.p2align	6, 0x0
	.amdhsa_kernel _Z20warp_exchange_kernelILj256ELj4ELj16EN6common25BlockedToStripedShuffleOpEnEvPT3_j
		.amdhsa_group_segment_fixed_size 0
		.amdhsa_private_segment_fixed_size 0
		.amdhsa_kernarg_size 12
		.amdhsa_user_sgpr_count 2
		.amdhsa_user_sgpr_dispatch_ptr 0
		.amdhsa_user_sgpr_queue_ptr 0
		.amdhsa_user_sgpr_kernarg_segment_ptr 1
		.amdhsa_user_sgpr_dispatch_id 0
		.amdhsa_user_sgpr_kernarg_preload_length 0
		.amdhsa_user_sgpr_kernarg_preload_offset 0
		.amdhsa_user_sgpr_private_segment_size 0
		.amdhsa_uses_dynamic_stack 0
		.amdhsa_enable_private_segment 0
		.amdhsa_system_sgpr_workgroup_id_x 1
		.amdhsa_system_sgpr_workgroup_id_y 0
		.amdhsa_system_sgpr_workgroup_id_z 0
		.amdhsa_system_sgpr_workgroup_info 0
		.amdhsa_system_vgpr_workitem_id 0
		.amdhsa_next_free_vgpr 32
		.amdhsa_next_free_sgpr 52
		.amdhsa_accum_offset 32
		.amdhsa_reserve_vcc 1
		.amdhsa_float_round_mode_32 0
		.amdhsa_float_round_mode_16_64 0
		.amdhsa_float_denorm_mode_32 3
		.amdhsa_float_denorm_mode_16_64 3
		.amdhsa_dx10_clamp 1
		.amdhsa_ieee_mode 1
		.amdhsa_fp16_overflow 0
		.amdhsa_tg_split 0
		.amdhsa_exception_fp_ieee_invalid_op 0
		.amdhsa_exception_fp_denorm_src 0
		.amdhsa_exception_fp_ieee_div_zero 0
		.amdhsa_exception_fp_ieee_overflow 0
		.amdhsa_exception_fp_ieee_underflow 0
		.amdhsa_exception_fp_ieee_inexact 0
		.amdhsa_exception_int_div_zero 0
	.end_amdhsa_kernel
	.section	.text._Z20warp_exchange_kernelILj256ELj4ELj16EN6common25BlockedToStripedShuffleOpEnEvPT3_j,"axG",@progbits,_Z20warp_exchange_kernelILj256ELj4ELj16EN6common25BlockedToStripedShuffleOpEnEvPT3_j,comdat
.Lfunc_end48:
	.size	_Z20warp_exchange_kernelILj256ELj4ELj16EN6common25BlockedToStripedShuffleOpEnEvPT3_j, .Lfunc_end48-_Z20warp_exchange_kernelILj256ELj4ELj16EN6common25BlockedToStripedShuffleOpEnEvPT3_j
                                        ; -- End function
	.section	.AMDGPU.csdata,"",@progbits
; Kernel info:
; codeLenInByte = 1704
; NumSgprs: 58
; NumVgprs: 32
; NumAgprs: 0
; TotalNumVgprs: 32
; ScratchSize: 0
; MemoryBound: 0
; FloatMode: 240
; IeeeMode: 1
; LDSByteSize: 0 bytes/workgroup (compile time only)
; SGPRBlocks: 7
; VGPRBlocks: 3
; NumSGPRsForWavesPerEU: 58
; NumVGPRsForWavesPerEU: 32
; AccumOffset: 32
; Occupancy: 8
; WaveLimiterHint : 0
; COMPUTE_PGM_RSRC2:SCRATCH_EN: 0
; COMPUTE_PGM_RSRC2:USER_SGPR: 2
; COMPUTE_PGM_RSRC2:TRAP_HANDLER: 0
; COMPUTE_PGM_RSRC2:TGID_X_EN: 1
; COMPUTE_PGM_RSRC2:TGID_Y_EN: 0
; COMPUTE_PGM_RSRC2:TGID_Z_EN: 0
; COMPUTE_PGM_RSRC2:TIDIG_COMP_CNT: 0
; COMPUTE_PGM_RSRC3_GFX90A:ACCUM_OFFSET: 7
; COMPUTE_PGM_RSRC3_GFX90A:TG_SPLIT: 0
	.section	.text._Z20warp_exchange_kernelILj256ELj4ELj32EN6common25BlockedToStripedShuffleOpEnEvPT3_j,"axG",@progbits,_Z20warp_exchange_kernelILj256ELj4ELj32EN6common25BlockedToStripedShuffleOpEnEvPT3_j,comdat
	.protected	_Z20warp_exchange_kernelILj256ELj4ELj32EN6common25BlockedToStripedShuffleOpEnEvPT3_j ; -- Begin function _Z20warp_exchange_kernelILj256ELj4ELj32EN6common25BlockedToStripedShuffleOpEnEvPT3_j
	.globl	_Z20warp_exchange_kernelILj256ELj4ELj32EN6common25BlockedToStripedShuffleOpEnEvPT3_j
	.p2align	8
	.type	_Z20warp_exchange_kernelILj256ELj4ELj32EN6common25BlockedToStripedShuffleOpEnEvPT3_j,@function
_Z20warp_exchange_kernelILj256ELj4ELj32EN6common25BlockedToStripedShuffleOpEnEvPT3_j: ; @_Z20warp_exchange_kernelILj256ELj4ELj32EN6common25BlockedToStripedShuffleOpEnEvPT3_j
; %bb.0:
	s_load_dword s3, s[0:1], 0x8
	v_lshlrev_b32_e32 v16, 2, v0
	v_mov_b32_e32 v17, 0
	v_or_b32_e32 v22, 1, v16
	v_or_b32_e32 v20, 2, v16
	s_waitcnt lgkmcnt(0)
	s_cmp_eq_u32 s3, 0
	v_or_b32_e32 v18, 3, v16
	s_cbranch_scc1 .LBB49_27
; %bb.1:
	v_mbcnt_lo_u32_b32 v0, -1, 0
	v_mbcnt_hi_u32_b32 v0, -1, v0
	v_and_b32_e32 v1, 3, v0
	v_lshlrev_b32_e32 v2, 2, v0
	v_and_b32_e32 v0, 28, v0
	s_movk_i32 s4, 0x180
	v_and_or_b32 v26, v2, s4, v0
	v_cmp_eq_u32_e32 vcc, 0, v1
	v_cmp_eq_u32_e64 s[8:9], 1, v1
	v_cmp_eq_u32_e64 s[4:5], 2, v1
	;; [unrolled: 1-line block ×3, first 2 shown]
	v_or_b32_e32 v27, 32, v26
	v_or_b32_e32 v28, 64, v26
	;; [unrolled: 1-line block ×3, first 2 shown]
	v_mov_b32_e32 v30, 0
	v_mov_b32_e32 v31, 0
	;; [unrolled: 1-line block ×12, first 2 shown]
	s_branch .LBB49_3
.LBB49_2:                               ;   in Loop: Header=BB49_3 Depth=1
	s_or_b64 exec, exec, s[10:11]
	s_add_i32 s3, s3, -1
	s_cmp_lg_u32 s3, 0
	s_waitcnt lgkmcnt(3)
	v_mov_b32_e32 v18, v12
	v_mov_b32_e32 v17, v13
	;; [unrolled: 1-line block ×4, first 2 shown]
	s_waitcnt lgkmcnt(1)
	v_mov_b32_e32 v20, v8
	v_mov_b32_e32 v19, v9
	;; [unrolled: 1-line block ×5, first 2 shown]
	s_waitcnt lgkmcnt(0)
	v_mov_b32_e32 v21, v5
	v_mov_b32_e32 v24, v6
	;; [unrolled: 1-line block ×7, first 2 shown]
	; wave barrier
	s_cbranch_scc0 .LBB49_28
.LBB49_3:                               ; =>This Inner Loop Header: Depth=1
	ds_bpermute_b32 v0, v26, v23
	ds_bpermute_b32 v1, v26, v34
	;; [unrolled: 1-line block ×4, first 2 shown]
	s_and_saveexec_b64 s[10:11], vcc
	s_or_b64 exec, exec, s[10:11]
	ds_bpermute_b32 v4, v26, v22
	ds_bpermute_b32 v5, v26, v21
	;; [unrolled: 1-line block ×4, first 2 shown]
	s_and_saveexec_b64 s[10:11], s[8:9]
	s_cbranch_execz .LBB49_5
; %bb.4:                                ;   in Loop: Header=BB49_3 Depth=1
	s_waitcnt lgkmcnt(2)
	v_mov_b64_e32 v[0:1], v[4:5]
	s_waitcnt lgkmcnt(0)
	v_mov_b64_e32 v[2:3], v[6:7]
.LBB49_5:                               ;   in Loop: Header=BB49_3 Depth=1
	s_or_b64 exec, exec, s[10:11]
	s_waitcnt lgkmcnt(3)
	ds_bpermute_b32 v4, v26, v20
	s_waitcnt lgkmcnt(3)
	ds_bpermute_b32 v5, v26, v19
	s_waitcnt lgkmcnt(3)
	ds_bpermute_b32 v6, v26, v32
	s_waitcnt lgkmcnt(3)
	ds_bpermute_b32 v7, v26, v33
	s_and_saveexec_b64 s[10:11], s[4:5]
	s_cbranch_execz .LBB49_7
; %bb.6:                                ;   in Loop: Header=BB49_3 Depth=1
	s_waitcnt lgkmcnt(2)
	v_mov_b64_e32 v[0:1], v[4:5]
	s_waitcnt lgkmcnt(0)
	v_mov_b64_e32 v[2:3], v[6:7]
.LBB49_7:                               ;   in Loop: Header=BB49_3 Depth=1
	s_or_b64 exec, exec, s[10:11]
	s_waitcnt lgkmcnt(3)
	ds_bpermute_b32 v4, v26, v18
	s_waitcnt lgkmcnt(3)
	ds_bpermute_b32 v5, v26, v17
	s_waitcnt lgkmcnt(3)
	ds_bpermute_b32 v6, v26, v30
	s_waitcnt lgkmcnt(3)
	ds_bpermute_b32 v7, v26, v31
	;; [unrolled: 17-line block ×3, first 2 shown]
	s_and_saveexec_b64 s[10:11], vcc
	s_or_b64 exec, exec, s[10:11]
	ds_bpermute_b32 v8, v27, v22
	ds_bpermute_b32 v9, v27, v21
	;; [unrolled: 1-line block ×4, first 2 shown]
	s_and_saveexec_b64 s[10:11], s[8:9]
	s_cbranch_execz .LBB49_11
; %bb.10:                               ;   in Loop: Header=BB49_3 Depth=1
	s_waitcnt lgkmcnt(2)
	v_mov_b64_e32 v[4:5], v[8:9]
	s_waitcnt lgkmcnt(0)
	v_mov_b64_e32 v[6:7], v[10:11]
.LBB49_11:                              ;   in Loop: Header=BB49_3 Depth=1
	s_or_b64 exec, exec, s[10:11]
	s_waitcnt lgkmcnt(3)
	ds_bpermute_b32 v8, v27, v20
	s_waitcnt lgkmcnt(3)
	ds_bpermute_b32 v9, v27, v19
	s_waitcnt lgkmcnt(3)
	ds_bpermute_b32 v10, v27, v32
	s_waitcnt lgkmcnt(3)
	ds_bpermute_b32 v11, v27, v33
	s_and_saveexec_b64 s[10:11], s[4:5]
	s_cbranch_execz .LBB49_13
; %bb.12:                               ;   in Loop: Header=BB49_3 Depth=1
	s_waitcnt lgkmcnt(2)
	v_mov_b64_e32 v[4:5], v[8:9]
	s_waitcnt lgkmcnt(0)
	v_mov_b64_e32 v[6:7], v[10:11]
.LBB49_13:                              ;   in Loop: Header=BB49_3 Depth=1
	s_or_b64 exec, exec, s[10:11]
	s_waitcnt lgkmcnt(3)
	ds_bpermute_b32 v8, v27, v18
	s_waitcnt lgkmcnt(3)
	ds_bpermute_b32 v9, v27, v17
	s_waitcnt lgkmcnt(3)
	ds_bpermute_b32 v10, v27, v30
	s_waitcnt lgkmcnt(3)
	ds_bpermute_b32 v11, v27, v31
	;; [unrolled: 17-line block ×3, first 2 shown]
	s_and_saveexec_b64 s[10:11], vcc
	s_or_b64 exec, exec, s[10:11]
	ds_bpermute_b32 v12, v28, v22
	ds_bpermute_b32 v13, v28, v21
	;; [unrolled: 1-line block ×4, first 2 shown]
	s_and_saveexec_b64 s[10:11], s[8:9]
	s_cbranch_execz .LBB49_17
; %bb.16:                               ;   in Loop: Header=BB49_3 Depth=1
	s_waitcnt lgkmcnt(2)
	v_mov_b64_e32 v[8:9], v[12:13]
	s_waitcnt lgkmcnt(0)
	v_mov_b64_e32 v[10:11], v[14:15]
.LBB49_17:                              ;   in Loop: Header=BB49_3 Depth=1
	s_or_b64 exec, exec, s[10:11]
	s_waitcnt lgkmcnt(3)
	ds_bpermute_b32 v12, v28, v20
	s_waitcnt lgkmcnt(3)
	ds_bpermute_b32 v13, v28, v19
	s_waitcnt lgkmcnt(3)
	ds_bpermute_b32 v14, v28, v32
	s_waitcnt lgkmcnt(3)
	ds_bpermute_b32 v15, v28, v33
	s_and_saveexec_b64 s[10:11], s[4:5]
	s_cbranch_execz .LBB49_19
; %bb.18:                               ;   in Loop: Header=BB49_3 Depth=1
	s_waitcnt lgkmcnt(2)
	v_mov_b64_e32 v[8:9], v[12:13]
	s_waitcnt lgkmcnt(0)
	v_mov_b64_e32 v[10:11], v[14:15]
.LBB49_19:                              ;   in Loop: Header=BB49_3 Depth=1
	s_or_b64 exec, exec, s[10:11]
	s_waitcnt lgkmcnt(3)
	ds_bpermute_b32 v12, v28, v18
	s_waitcnt lgkmcnt(3)
	ds_bpermute_b32 v13, v28, v17
	s_waitcnt lgkmcnt(3)
	ds_bpermute_b32 v14, v28, v30
	s_waitcnt lgkmcnt(3)
	ds_bpermute_b32 v15, v28, v31
	;; [unrolled: 17-line block ×3, first 2 shown]
	s_and_saveexec_b64 s[10:11], vcc
	s_or_b64 exec, exec, s[10:11]
	ds_bpermute_b32 v22, v29, v22
	ds_bpermute_b32 v23, v29, v21
	;; [unrolled: 1-line block ×4, first 2 shown]
	s_and_saveexec_b64 s[10:11], s[8:9]
	s_cbranch_execz .LBB49_23
; %bb.22:                               ;   in Loop: Header=BB49_3 Depth=1
	s_waitcnt lgkmcnt(2)
	v_mov_b64_e32 v[12:13], v[22:23]
	s_waitcnt lgkmcnt(0)
	v_mov_b64_e32 v[14:15], v[24:25]
.LBB49_23:                              ;   in Loop: Header=BB49_3 Depth=1
	s_or_b64 exec, exec, s[10:11]
	ds_bpermute_b32 v20, v29, v20
	ds_bpermute_b32 v21, v29, v19
	s_waitcnt lgkmcnt(5)
	ds_bpermute_b32 v22, v29, v32
	s_waitcnt lgkmcnt(5)
	ds_bpermute_b32 v23, v29, v33
	s_and_saveexec_b64 s[10:11], s[4:5]
	s_cbranch_execz .LBB49_25
; %bb.24:                               ;   in Loop: Header=BB49_3 Depth=1
	s_waitcnt lgkmcnt(2)
	v_mov_b64_e32 v[12:13], v[20:21]
	s_waitcnt lgkmcnt(0)
	v_mov_b64_e32 v[14:15], v[22:23]
.LBB49_25:                              ;   in Loop: Header=BB49_3 Depth=1
	s_or_b64 exec, exec, s[10:11]
	ds_bpermute_b32 v18, v29, v18
	ds_bpermute_b32 v19, v29, v17
	s_waitcnt lgkmcnt(5)
	ds_bpermute_b32 v20, v29, v30
	s_waitcnt lgkmcnt(5)
	ds_bpermute_b32 v21, v29, v31
	s_and_saveexec_b64 s[10:11], s[6:7]
	s_cbranch_execz .LBB49_2
; %bb.26:                               ;   in Loop: Header=BB49_3 Depth=1
	s_waitcnt lgkmcnt(2)
	v_mov_b64_e32 v[12:13], v[18:19]
	s_waitcnt lgkmcnt(0)
	v_mov_b64_e32 v[14:15], v[20:21]
	s_branch .LBB49_2
.LBB49_27:
	v_mov_b64_e32 v[2:3], 0
	v_mov_b32_e32 v23, v17
	v_mov_b32_e32 v21, v17
	;; [unrolled: 1-line block ×3, first 2 shown]
	v_mov_b64_e32 v[14:15], 0
	v_mov_b64_e32 v[0:1], v[16:17]
	;; [unrolled: 1-line block ×7, first 2 shown]
.LBB49_28:
	s_load_dwordx2 s[0:1], s[0:1], 0x0
	v_lshl_or_b32 v16, s2, 10, v16
	v_mov_b32_e32 v17, 0
	s_waitcnt lgkmcnt(0)
	v_lshl_add_u64 v[16:17], v[16:17], 4, s[0:1]
	global_store_dwordx4 v[16:17], v[0:3], off
	global_store_dwordx4 v[16:17], v[4:7], off offset:16
	global_store_dwordx4 v[16:17], v[8:11], off offset:32
	global_store_dwordx4 v[16:17], v[12:15], off offset:48
	s_endpgm
	.section	.rodata,"a",@progbits
	.p2align	6, 0x0
	.amdhsa_kernel _Z20warp_exchange_kernelILj256ELj4ELj32EN6common25BlockedToStripedShuffleOpEnEvPT3_j
		.amdhsa_group_segment_fixed_size 0
		.amdhsa_private_segment_fixed_size 0
		.amdhsa_kernarg_size 12
		.amdhsa_user_sgpr_count 2
		.amdhsa_user_sgpr_dispatch_ptr 0
		.amdhsa_user_sgpr_queue_ptr 0
		.amdhsa_user_sgpr_kernarg_segment_ptr 1
		.amdhsa_user_sgpr_dispatch_id 0
		.amdhsa_user_sgpr_kernarg_preload_length 0
		.amdhsa_user_sgpr_kernarg_preload_offset 0
		.amdhsa_user_sgpr_private_segment_size 0
		.amdhsa_uses_dynamic_stack 0
		.amdhsa_enable_private_segment 0
		.amdhsa_system_sgpr_workgroup_id_x 1
		.amdhsa_system_sgpr_workgroup_id_y 0
		.amdhsa_system_sgpr_workgroup_id_z 0
		.amdhsa_system_sgpr_workgroup_info 0
		.amdhsa_system_vgpr_workitem_id 0
		.amdhsa_next_free_vgpr 37
		.amdhsa_next_free_sgpr 12
		.amdhsa_accum_offset 40
		.amdhsa_reserve_vcc 1
		.amdhsa_float_round_mode_32 0
		.amdhsa_float_round_mode_16_64 0
		.amdhsa_float_denorm_mode_32 3
		.amdhsa_float_denorm_mode_16_64 3
		.amdhsa_dx10_clamp 1
		.amdhsa_ieee_mode 1
		.amdhsa_fp16_overflow 0
		.amdhsa_tg_split 0
		.amdhsa_exception_fp_ieee_invalid_op 0
		.amdhsa_exception_fp_denorm_src 0
		.amdhsa_exception_fp_ieee_div_zero 0
		.amdhsa_exception_fp_ieee_overflow 0
		.amdhsa_exception_fp_ieee_underflow 0
		.amdhsa_exception_fp_ieee_inexact 0
		.amdhsa_exception_int_div_zero 0
	.end_amdhsa_kernel
	.section	.text._Z20warp_exchange_kernelILj256ELj4ELj32EN6common25BlockedToStripedShuffleOpEnEvPT3_j,"axG",@progbits,_Z20warp_exchange_kernelILj256ELj4ELj32EN6common25BlockedToStripedShuffleOpEnEvPT3_j,comdat
.Lfunc_end49:
	.size	_Z20warp_exchange_kernelILj256ELj4ELj32EN6common25BlockedToStripedShuffleOpEnEvPT3_j, .Lfunc_end49-_Z20warp_exchange_kernelILj256ELj4ELj32EN6common25BlockedToStripedShuffleOpEnEvPT3_j
                                        ; -- End function
	.section	.AMDGPU.csdata,"",@progbits
; Kernel info:
; codeLenInByte = 1420
; NumSgprs: 18
; NumVgprs: 37
; NumAgprs: 0
; TotalNumVgprs: 37
; ScratchSize: 0
; MemoryBound: 0
; FloatMode: 240
; IeeeMode: 1
; LDSByteSize: 0 bytes/workgroup (compile time only)
; SGPRBlocks: 2
; VGPRBlocks: 4
; NumSGPRsForWavesPerEU: 18
; NumVGPRsForWavesPerEU: 37
; AccumOffset: 40
; Occupancy: 8
; WaveLimiterHint : 0
; COMPUTE_PGM_RSRC2:SCRATCH_EN: 0
; COMPUTE_PGM_RSRC2:USER_SGPR: 2
; COMPUTE_PGM_RSRC2:TRAP_HANDLER: 0
; COMPUTE_PGM_RSRC2:TGID_X_EN: 1
; COMPUTE_PGM_RSRC2:TGID_Y_EN: 0
; COMPUTE_PGM_RSRC2:TGID_Z_EN: 0
; COMPUTE_PGM_RSRC2:TIDIG_COMP_CNT: 0
; COMPUTE_PGM_RSRC3_GFX90A:ACCUM_OFFSET: 9
; COMPUTE_PGM_RSRC3_GFX90A:TG_SPLIT: 0
	.section	.text._Z20warp_exchange_kernelILj256ELj16ELj16EN6common25BlockedToStripedShuffleOpEnEvPT3_j,"axG",@progbits,_Z20warp_exchange_kernelILj256ELj16ELj16EN6common25BlockedToStripedShuffleOpEnEvPT3_j,comdat
	.protected	_Z20warp_exchange_kernelILj256ELj16ELj16EN6common25BlockedToStripedShuffleOpEnEvPT3_j ; -- Begin function _Z20warp_exchange_kernelILj256ELj16ELj16EN6common25BlockedToStripedShuffleOpEnEvPT3_j
	.globl	_Z20warp_exchange_kernelILj256ELj16ELj16EN6common25BlockedToStripedShuffleOpEnEvPT3_j
	.p2align	8
	.type	_Z20warp_exchange_kernelILj256ELj16ELj16EN6common25BlockedToStripedShuffleOpEnEvPT3_j,@function
_Z20warp_exchange_kernelILj256ELj16ELj16EN6common25BlockedToStripedShuffleOpEnEvPT3_j: ; @_Z20warp_exchange_kernelILj256ELj16ELj16EN6common25BlockedToStripedShuffleOpEnEvPT3_j
; %bb.0:
	s_load_dword s3, s[0:1], 0x8
	v_lshlrev_b32_e32 v64, 4, v0
	v_or_b32_e32 v56, 1, v64
	v_or_b32_e32 v52, 2, v64
	;; [unrolled: 1-line block ×14, first 2 shown]
	s_waitcnt lgkmcnt(0)
	s_cmp_eq_u32 s3, 0
	v_or_b32_e32 v0, 15, v64
	s_cbranch_scc1 .LBB50_3
; %bb.1:
	v_mbcnt_lo_u32_b32 v6, -1, 0
	v_mbcnt_hi_u32_b32 v6, -1, v6
	v_and_b32_e32 v7, 8, v6
	v_lshlrev_b32_e32 v10, 4, v7
	v_xor_b32_e32 v10, 0x80, v10
	v_and_b32_e32 v29, 4, v6
	v_mov_b32_e32 v11, 0
	v_add_u32_e32 v66, 0, v10
	v_mov_b32_e32 v10, 0x90
	v_cmp_eq_u32_e32 vcc, 0, v7
	v_mov_b32_e32 v7, 0xa0
	v_mov_b32_e32 v14, 0xb0
	;; [unrolled: 1-line block ×9, first 2 shown]
	v_lshlrev_b32_e32 v30, 4, v29
	v_mov_b32_e32 v1, 0
	v_cndmask_b32_e32 v67, 16, v10, vcc
	v_cndmask_b32_e32 v68, 32, v7, vcc
	;; [unrolled: 1-line block ×7, first 2 shown]
	v_xad_u32 v74, v30, 64, v11
	v_cmp_eq_u32_e32 vcc, 0, v29
	v_mov_b32_e32 v29, 0x80
	v_and_b32_e32 v30, 2, v6
	v_and_b32_e32 v6, 1, v6
	v_mov_b64_e32 v[2:3], 0
	v_mov_b32_e32 v65, v1
	v_cndmask_b32_e32 v75, 16, v18, vcc
	v_cndmask_b32_e32 v76, 32, v22, vcc
	;; [unrolled: 1-line block ×7, first 2 shown]
	v_lshlrev_b32_e32 v31, 4, v30
	v_cmp_eq_u32_e32 vcc, 0, v30
	v_lshlrev_b32_e32 v30, 4, v6
	v_cmp_eq_u32_e64 s[4:5], 0, v6
	v_mov_b32_e32 v5, v1
	v_mov_b32_e32 v9, v1
	;; [unrolled: 1-line block ×7, first 2 shown]
	v_xad_u32 v82, v31, 32, v11
	v_cndmask_b32_e32 v83, 64, v22, vcc
	v_cndmask_b32_e32 v84, v18, v26, vcc
	v_xad_u32 v85, v30, 16, v11
	v_cndmask_b32_e32 v86, v29, v7, vcc
	v_cndmask_b32_e64 v87, v22, v26, s[4:5]
	v_cndmask_b32_e32 v88, v10, v14, vcc
	v_cndmask_b32_e64 v89, v29, v10, s[4:5]
	v_cndmask_b32_e32 v90, v15, v23, vcc
	v_cndmask_b32_e64 v91, v7, v14, s[4:5]
	v_cndmask_b32_e32 v92, v19, v27, vcc
	v_cndmask_b32_e64 v93, 64, v18, s[4:5]
	v_cndmask_b32_e64 v94, v15, v19, s[4:5]
	v_cndmask_b32_e64 v95, v23, v27, s[4:5]
	v_mov_b64_e32 v[6:7], v[2:3]
	v_mov_b64_e32 v[10:11], v[2:3]
	;; [unrolled: 1-line block ×7, first 2 shown]
	v_mov_b32_e32 v29, v1
	v_mov_b64_e32 v[30:31], v[2:3]
	v_mov_b32_e32 v33, v1
	v_mov_b64_e32 v[34:35], v[2:3]
	;; [unrolled: 2-line block ×7, first 2 shown]
	v_mov_b64_e32 v[62:63], 0
	v_mov_b64_e32 v[60:61], v[64:65]
	v_cndmask_b32_e64 v65, 16, 48, vcc
	v_cndmask_b32_e64 v96, 32, 48, s[4:5]
.LBB50_2:                               ; =>This Inner Loop Header: Depth=1
	s_waitcnt vmcnt(13)
	scratch_store_dwordx4 off, v[60:63], off
	s_waitcnt vmcnt(13)
	scratch_store_dwordx4 off, v[56:59], off offset:16
	s_waitcnt vmcnt(13)
	scratch_store_dwordx4 off, v[52:55], off offset:32
	scratch_store_dwordx4 off, v[44:47], off offset:48
	;; [unrolled: 1-line block ×6, first 2 shown]
	s_waitcnt vmcnt(18)
	scratch_store_dwordx4 off, v[36:39], off offset:128
	scratch_load_dwordx4 v[28:31], v66, off
	s_add_i32 s3, s3, -1
	s_waitcnt vmcnt(19)
	scratch_store_dwordx4 off, v[24:27], off offset:144
	s_waitcnt vmcnt(18)
	scratch_store_dwordx4 off, v[20:23], off offset:160
	;; [unrolled: 2-line block ×5, first 2 shown]
	s_cmp_lg_u32 s3, 0
	s_waitcnt vmcnt(5)
	ds_swizzle_b32 v24, v28 offset:swizzle(SWAP,8)
	ds_swizzle_b32 v25, v29 offset:swizzle(SWAP,8)
	ds_swizzle_b32 v26, v30 offset:swizzle(SWAP,8)
	ds_swizzle_b32 v27, v31 offset:swizzle(SWAP,8)
	s_waitcnt lgkmcnt(0)
	scratch_store_dwordx4 v66, v[24:27], off
	scratch_load_dwordx4 v[24:27], v67, off
	s_waitcnt vmcnt(0)
	ds_swizzle_b32 v20, v24 offset:swizzle(SWAP,8)
	ds_swizzle_b32 v21, v25 offset:swizzle(SWAP,8)
	ds_swizzle_b32 v22, v26 offset:swizzle(SWAP,8)
	ds_swizzle_b32 v23, v27 offset:swizzle(SWAP,8)
	s_waitcnt lgkmcnt(0)
	scratch_store_dwordx4 v67, v[20:23], off
	scratch_load_dwordx4 v[20:23], v68, off
	;; [unrolled: 8-line block ×5, first 2 shown]
	s_nop 0
	scratch_load_dwordx4 v[12:15], v74, off
	s_nop 0
	scratch_store_dwordx4 off, v[4:7], off offset:224
	s_waitcnt vmcnt(2)
	ds_swizzle_b32 v4, v8 offset:swizzle(SWAP,8)
	ds_swizzle_b32 v5, v9 offset:swizzle(SWAP,8)
	;; [unrolled: 1-line block ×4, first 2 shown]
	s_waitcnt vmcnt(1)
	ds_swizzle_b32 v8, v12 offset:swizzle(SWAP,4)
	ds_swizzle_b32 v9, v13 offset:swizzle(SWAP,4)
	;; [unrolled: 1-line block ×4, first 2 shown]
	s_waitcnt lgkmcnt(4)
	scratch_store_dwordx4 v71, v[4:7], off
	s_waitcnt lgkmcnt(0)
	scratch_store_dwordx4 v74, v[8:11], off
	scratch_load_dwordx4 v[4:7], v72, off
	s_nop 0
	scratch_load_dwordx4 v[8:11], v75, off
	s_nop 0
	scratch_store_dwordx4 off, v[0:3], off offset:240
	s_waitcnt vmcnt(2)
	ds_swizzle_b32 v0, v4 offset:swizzle(SWAP,8)
	ds_swizzle_b32 v1, v5 offset:swizzle(SWAP,8)
	;; [unrolled: 1-line block ×4, first 2 shown]
	s_waitcnt vmcnt(1)
	ds_swizzle_b32 v4, v8 offset:swizzle(SWAP,4)
	ds_swizzle_b32 v5, v9 offset:swizzle(SWAP,4)
	;; [unrolled: 1-line block ×4, first 2 shown]
	s_waitcnt lgkmcnt(4)
	scratch_store_dwordx4 v72, v[0:3], off
	s_waitcnt lgkmcnt(0)
	scratch_store_dwordx4 v75, v[4:7], off
	scratch_load_dwordx4 v[0:3], v73, off
	s_nop 0
	scratch_load_dwordx4 v[4:7], v76, off
	s_waitcnt vmcnt(1)
	ds_swizzle_b32 v0, v0 offset:swizzle(SWAP,8)
	ds_swizzle_b32 v1, v1 offset:swizzle(SWAP,8)
	;; [unrolled: 1-line block ×4, first 2 shown]
	s_waitcnt vmcnt(0)
	ds_swizzle_b32 v4, v4 offset:swizzle(SWAP,4)
	ds_swizzle_b32 v5, v5 offset:swizzle(SWAP,4)
	;; [unrolled: 1-line block ×4, first 2 shown]
	s_waitcnt lgkmcnt(4)
	scratch_store_dwordx4 v73, v[0:3], off
	s_waitcnt lgkmcnt(0)
	scratch_store_dwordx4 v76, v[4:7], off
	scratch_load_dwordx4 v[0:3], v78, off
	s_nop 0
	scratch_load_dwordx4 v[4:7], v77, off
	s_waitcnt vmcnt(1)
	ds_swizzle_b32 v0, v0 offset:swizzle(SWAP,4)
	ds_swizzle_b32 v1, v1 offset:swizzle(SWAP,4)
	;; [unrolled: 1-line block ×4, first 2 shown]
	s_waitcnt vmcnt(0)
	ds_swizzle_b32 v4, v4 offset:swizzle(SWAP,4)
	ds_swizzle_b32 v5, v5 offset:swizzle(SWAP,4)
	;; [unrolled: 1-line block ×4, first 2 shown]
	s_waitcnt lgkmcnt(4)
	scratch_store_dwordx4 v78, v[0:3], off
	scratch_load_dwordx4 v[0:3], v79, off
	s_nop 0
	scratch_load_dwordx4 v[8:11], v82, off
	s_waitcnt vmcnt(1)
	ds_swizzle_b32 v0, v0 offset:swizzle(SWAP,4)
	ds_swizzle_b32 v1, v1 offset:swizzle(SWAP,4)
	;; [unrolled: 1-line block ×4, first 2 shown]
	s_waitcnt lgkmcnt(4)
	scratch_store_dwordx4 v77, v[4:7], off
	s_waitcnt vmcnt(1)
	ds_swizzle_b32 v4, v8 offset:swizzle(SWAP,2)
	ds_swizzle_b32 v5, v9 offset:swizzle(SWAP,2)
	;; [unrolled: 1-line block ×3, first 2 shown]
	s_waitcnt lgkmcnt(3)
	scratch_store_dwordx4 v79, v[0:3], off
	scratch_load_dwordx4 v[0:3], v80, off
	ds_swizzle_b32 v7, v11 offset:swizzle(SWAP,2)
	s_waitcnt lgkmcnt(0)
	scratch_store_dwordx4 v82, v[4:7], off
	scratch_load_dwordx4 v[4:7], v65, off
	s_waitcnt vmcnt(2)
	ds_swizzle_b32 v0, v0 offset:swizzle(SWAP,4)
	ds_swizzle_b32 v1, v1 offset:swizzle(SWAP,4)
	;; [unrolled: 1-line block ×4, first 2 shown]
	s_waitcnt vmcnt(0)
	ds_swizzle_b32 v4, v4 offset:swizzle(SWAP,2)
	s_waitcnt lgkmcnt(1)
	scratch_store_dwordx4 v80, v[0:3], off
	scratch_load_dwordx4 v[0:3], v83, off
	s_nop 0
	scratch_load_dwordx4 v[8:11], v81, off
	ds_swizzle_b32 v5, v5 offset:swizzle(SWAP,2)
	ds_swizzle_b32 v6, v6 offset:swizzle(SWAP,2)
	;; [unrolled: 1-line block ×3, first 2 shown]
	s_waitcnt vmcnt(1)
	ds_swizzle_b32 v0, v0 offset:swizzle(SWAP,2)
	ds_swizzle_b32 v1, v1 offset:swizzle(SWAP,2)
	;; [unrolled: 1-line block ×4, first 2 shown]
	s_waitcnt vmcnt(0)
	ds_swizzle_b32 v8, v8 offset:swizzle(SWAP,4)
	ds_swizzle_b32 v9, v9 offset:swizzle(SWAP,4)
	;; [unrolled: 1-line block ×4, first 2 shown]
	s_waitcnt lgkmcnt(4)
	scratch_store_dwordx4 v83, v[0:3], off
	scratch_load_dwordx4 v[0:3], v86, off
	s_nop 0
	scratch_load_dwordx4 v[12:15], v84, off
	s_waitcnt vmcnt(1)
	ds_swizzle_b32 v0, v0 offset:swizzle(SWAP,2)
	ds_swizzle_b32 v1, v1 offset:swizzle(SWAP,2)
	;; [unrolled: 1-line block ×4, first 2 shown]
	s_waitcnt lgkmcnt(4)
	scratch_store_dwordx4 v81, v[8:11], off
	s_waitcnt vmcnt(1)
	ds_swizzle_b32 v12, v12 offset:swizzle(SWAP,2)
	ds_swizzle_b32 v13, v13 offset:swizzle(SWAP,2)
	;; [unrolled: 1-line block ×3, first 2 shown]
	s_waitcnt lgkmcnt(3)
	scratch_store_dwordx4 v86, v[0:3], off
	scratch_load_dwordx4 v[0:3], v90, off
	s_nop 0
	scratch_load_dwordx4 v[8:11], v88, off
	ds_swizzle_b32 v15, v15 offset:swizzle(SWAP,2)
	scratch_store_dwordx4 v65, v[4:7], off
	scratch_load_dwordx4 v[4:7], v96, off
	s_waitcnt vmcnt(3)
	ds_swizzle_b32 v0, v0 offset:swizzle(SWAP,2)
	ds_swizzle_b32 v1, v1 offset:swizzle(SWAP,2)
	;; [unrolled: 1-line block ×4, first 2 shown]
	s_waitcnt lgkmcnt(4)
	scratch_store_dwordx4 v84, v[12:15], off
	s_waitcnt vmcnt(3)
	ds_swizzle_b32 v8, v8 offset:swizzle(SWAP,2)
	ds_swizzle_b32 v9, v9 offset:swizzle(SWAP,2)
	;; [unrolled: 1-line block ×3, first 2 shown]
	s_waitcnt lgkmcnt(3)
	scratch_store_dwordx4 v90, v[0:3], off
	scratch_load_dwordx4 v[0:3], v92, off
	s_nop 0
	scratch_load_dwordx4 v[12:15], v93, off
	scratch_load_dwordx4 v[16:19], v87, off
	ds_swizzle_b32 v11, v11 offset:swizzle(SWAP,2)
	s_waitcnt vmcnt(5)
	ds_swizzle_b32 v4, v4 offset:swizzle(SWAP,1)
	ds_swizzle_b32 v5, v5 offset:swizzle(SWAP,1)
	;; [unrolled: 1-line block ×4, first 2 shown]
	s_waitcnt lgkmcnt(4)
	scratch_store_dwordx4 v88, v[8:11], off
	scratch_load_dwordx4 v[8:11], v85, off
	s_nop 0
	scratch_load_dwordx4 v[20:23], v89, off
	scratch_load_dwordx4 v[24:27], v91, off
	s_waitcnt vmcnt(6)
	ds_swizzle_b32 v0, v0 offset:swizzle(SWAP,2)
	ds_swizzle_b32 v1, v1 offset:swizzle(SWAP,2)
	;; [unrolled: 1-line block ×4, first 2 shown]
	s_waitcnt lgkmcnt(0)
	scratch_store_dwordx4 v92, v[0:3], off
	scratch_load_dwordx4 v[0:3], v94, off
	s_nop 0
	scratch_load_dwordx4 v[98:101], v95, off
	s_waitcnt vmcnt(1)
	ds_swizzle_b32 v0, v0 offset:swizzle(SWAP,1)
	scratch_store_dwordx4 v96, v[4:7], off
	ds_swizzle_b32 v4, v12 offset:swizzle(SWAP,1)
	ds_swizzle_b32 v5, v13 offset:swizzle(SWAP,1)
	;; [unrolled: 1-line block ×4, first 2 shown]
	scratch_load_dwordx4 v[44:47], off, off offset:48
	ds_swizzle_b32 v1, v1 offset:swizzle(SWAP,1)
	ds_swizzle_b32 v2, v2 offset:swizzle(SWAP,1)
	;; [unrolled: 1-line block ×3, first 2 shown]
	s_waitcnt lgkmcnt(3)
	scratch_store_dwordx4 v93, v[4:7], off
	ds_swizzle_b32 v4, v16 offset:swizzle(SWAP,1)
	ds_swizzle_b32 v5, v17 offset:swizzle(SWAP,1)
	ds_swizzle_b32 v6, v18 offset:swizzle(SWAP,1)
	ds_swizzle_b32 v7, v19 offset:swizzle(SWAP,1)
	scratch_load_dwordx4 v[48:51], off, off offset:64
	scratch_load_dwordx4 v[40:43], off, off offset:80
	s_waitcnt lgkmcnt(0)
	scratch_store_dwordx4 v87, v[4:7], off
	ds_swizzle_b32 v4, v8 offset:swizzle(SWAP,1)
	ds_swizzle_b32 v5, v9 offset:swizzle(SWAP,1)
	;; [unrolled: 1-line block ×8, first 2 shown]
	scratch_load_dwordx4 v[32:35], off, off offset:96
	scratch_load_dwordx4 v[28:31], off, off offset:112
	s_waitcnt lgkmcnt(4)
	scratch_store_dwordx4 v85, v[4:7], off
	s_waitcnt lgkmcnt(0)
	scratch_store_dwordx4 v89, v[8:11], off
	ds_swizzle_b32 v4, v24 offset:swizzle(SWAP,1)
	ds_swizzle_b32 v5, v25 offset:swizzle(SWAP,1)
	;; [unrolled: 1-line block ×4, first 2 shown]
	scratch_load_dwordx4 v[60:63], off, off
	scratch_load_dwordx4 v[56:59], off, off offset:16
	scratch_load_dwordx4 v[52:55], off, off offset:32
	;; [unrolled: 1-line block ×4, first 2 shown]
	s_waitcnt lgkmcnt(0)
	scratch_store_dwordx4 v91, v[4:7], off
	s_waitcnt vmcnt(16)
	ds_swizzle_b32 v4, v98 offset:swizzle(SWAP,1)
	ds_swizzle_b32 v5, v99 offset:swizzle(SWAP,1)
	;; [unrolled: 1-line block ×4, first 2 shown]
	scratch_load_dwordx4 v[20:23], off, off offset:160
	scratch_load_dwordx4 v[12:15], off, off offset:176
	s_nop 0
	scratch_store_dwordx4 v94, v[0:3], off
	s_waitcnt lgkmcnt(0)
	scratch_store_dwordx4 v95, v[4:7], off
	scratch_load_dwordx4 v[16:19], off, off offset:192
	scratch_load_dwordx4 v[8:11], off, off offset:208
	s_nop 0
	scratch_load_dwordx4 v[4:7], off, off offset:224
	scratch_load_dwordx4 v[0:3], off, off offset:240
	; wave barrier
	s_cbranch_scc1 .LBB50_2
	s_branch .LBB50_4
.LBB50_3:
	v_mov_b32_e32 v65, 0
	v_mov_b64_e32 v[62:63], 0
	v_mov_b64_e32 v[2:3], 0
	v_mov_b32_e32 v57, v65
	v_mov_b32_e32 v53, v65
	;; [unrolled: 1-line block ×13, first 2 shown]
	v_mov_b64_e32 v[60:61], v[64:65]
	v_mov_b64_e32 v[58:59], v[62:63]
	;; [unrolled: 1-line block ×13, first 2 shown]
	v_mov_b32_e32 v9, v65
	v_mov_b64_e32 v[10:11], v[62:63]
	v_mov_b32_e32 v5, v65
	v_mov_b64_e32 v[6:7], v[62:63]
.LBB50_4:
	s_load_dwordx2 s[0:1], s[0:1], 0x0
	v_lshl_or_b32 v64, s2, 12, v64
	v_mov_b32_e32 v65, 0
	s_waitcnt lgkmcnt(0)
	v_lshl_add_u64 v[64:65], v[64:65], 4, s[0:1]
	s_waitcnt vmcnt(13)
	global_store_dwordx4 v[64:65], v[60:63], off
	s_waitcnt vmcnt(13)
	global_store_dwordx4 v[64:65], v[56:59], off offset:16
	s_waitcnt vmcnt(13)
	global_store_dwordx4 v[64:65], v[52:55], off offset:32
	global_store_dwordx4 v[64:65], v[44:47], off offset:48
	;; [unrolled: 1-line block ×6, first 2 shown]
	s_waitcnt vmcnt(18)
	global_store_dwordx4 v[64:65], v[36:39], off offset:128
	s_waitcnt vmcnt(18)
	global_store_dwordx4 v[64:65], v[24:27], off offset:144
	;; [unrolled: 2-line block ×8, first 2 shown]
	s_endpgm
	.section	.rodata,"a",@progbits
	.p2align	6, 0x0
	.amdhsa_kernel _Z20warp_exchange_kernelILj256ELj16ELj16EN6common25BlockedToStripedShuffleOpEnEvPT3_j
		.amdhsa_group_segment_fixed_size 0
		.amdhsa_private_segment_fixed_size 272
		.amdhsa_kernarg_size 12
		.amdhsa_user_sgpr_count 2
		.amdhsa_user_sgpr_dispatch_ptr 0
		.amdhsa_user_sgpr_queue_ptr 0
		.amdhsa_user_sgpr_kernarg_segment_ptr 1
		.amdhsa_user_sgpr_dispatch_id 0
		.amdhsa_user_sgpr_kernarg_preload_length 0
		.amdhsa_user_sgpr_kernarg_preload_offset 0
		.amdhsa_user_sgpr_private_segment_size 0
		.amdhsa_uses_dynamic_stack 0
		.amdhsa_enable_private_segment 1
		.amdhsa_system_sgpr_workgroup_id_x 1
		.amdhsa_system_sgpr_workgroup_id_y 0
		.amdhsa_system_sgpr_workgroup_id_z 0
		.amdhsa_system_sgpr_workgroup_info 0
		.amdhsa_system_vgpr_workitem_id 0
		.amdhsa_next_free_vgpr 102
		.amdhsa_next_free_sgpr 6
		.amdhsa_accum_offset 104
		.amdhsa_reserve_vcc 1
		.amdhsa_float_round_mode_32 0
		.amdhsa_float_round_mode_16_64 0
		.amdhsa_float_denorm_mode_32 3
		.amdhsa_float_denorm_mode_16_64 3
		.amdhsa_dx10_clamp 1
		.amdhsa_ieee_mode 1
		.amdhsa_fp16_overflow 0
		.amdhsa_tg_split 0
		.amdhsa_exception_fp_ieee_invalid_op 0
		.amdhsa_exception_fp_denorm_src 0
		.amdhsa_exception_fp_ieee_div_zero 0
		.amdhsa_exception_fp_ieee_overflow 0
		.amdhsa_exception_fp_ieee_underflow 0
		.amdhsa_exception_fp_ieee_inexact 0
		.amdhsa_exception_int_div_zero 0
	.end_amdhsa_kernel
	.section	.text._Z20warp_exchange_kernelILj256ELj16ELj16EN6common25BlockedToStripedShuffleOpEnEvPT3_j,"axG",@progbits,_Z20warp_exchange_kernelILj256ELj16ELj16EN6common25BlockedToStripedShuffleOpEnEvPT3_j,comdat
.Lfunc_end50:
	.size	_Z20warp_exchange_kernelILj256ELj16ELj16EN6common25BlockedToStripedShuffleOpEnEvPT3_j, .Lfunc_end50-_Z20warp_exchange_kernelILj256ELj16ELj16EN6common25BlockedToStripedShuffleOpEnEvPT3_j
                                        ; -- End function
	.section	.AMDGPU.csdata,"",@progbits
; Kernel info:
; codeLenInByte = 3024
; NumSgprs: 12
; NumVgprs: 102
; NumAgprs: 0
; TotalNumVgprs: 102
; ScratchSize: 272
; MemoryBound: 0
; FloatMode: 240
; IeeeMode: 1
; LDSByteSize: 0 bytes/workgroup (compile time only)
; SGPRBlocks: 1
; VGPRBlocks: 12
; NumSGPRsForWavesPerEU: 12
; NumVGPRsForWavesPerEU: 102
; AccumOffset: 104
; Occupancy: 4
; WaveLimiterHint : 0
; COMPUTE_PGM_RSRC2:SCRATCH_EN: 1
; COMPUTE_PGM_RSRC2:USER_SGPR: 2
; COMPUTE_PGM_RSRC2:TRAP_HANDLER: 0
; COMPUTE_PGM_RSRC2:TGID_X_EN: 1
; COMPUTE_PGM_RSRC2:TGID_Y_EN: 0
; COMPUTE_PGM_RSRC2:TGID_Z_EN: 0
; COMPUTE_PGM_RSRC2:TIDIG_COMP_CNT: 0
; COMPUTE_PGM_RSRC3_GFX90A:ACCUM_OFFSET: 25
; COMPUTE_PGM_RSRC3_GFX90A:TG_SPLIT: 0
	.section	.text._Z20warp_exchange_kernelILj256ELj16ELj32EN6common25BlockedToStripedShuffleOpEnEvPT3_j,"axG",@progbits,_Z20warp_exchange_kernelILj256ELj16ELj32EN6common25BlockedToStripedShuffleOpEnEvPT3_j,comdat
	.protected	_Z20warp_exchange_kernelILj256ELj16ELj32EN6common25BlockedToStripedShuffleOpEnEvPT3_j ; -- Begin function _Z20warp_exchange_kernelILj256ELj16ELj32EN6common25BlockedToStripedShuffleOpEnEvPT3_j
	.globl	_Z20warp_exchange_kernelILj256ELj16ELj32EN6common25BlockedToStripedShuffleOpEnEvPT3_j
	.p2align	8
	.type	_Z20warp_exchange_kernelILj256ELj16ELj32EN6common25BlockedToStripedShuffleOpEnEvPT3_j,@function
_Z20warp_exchange_kernelILj256ELj16ELj32EN6common25BlockedToStripedShuffleOpEnEvPT3_j: ; @_Z20warp_exchange_kernelILj256ELj16ELj32EN6common25BlockedToStripedShuffleOpEnEvPT3_j
; %bb.0:
	s_load_dword s3, s[0:1], 0x8
	v_lshlrev_b32_e32 v64, 4, v0
	v_or_b32_e32 v52, 1, v64
	v_or_b32_e32 v0, 2, v64
	;; [unrolled: 1-line block ×14, first 2 shown]
	s_waitcnt lgkmcnt(0)
	s_cmp_eq_u32 s3, 0
	v_or_b32_e32 v36, 15, v64
	v_mov_b32_e32 v65, 0
	s_cbranch_scc1 .LBB51_4
; %bb.1:
	v_mbcnt_lo_u32_b32 v1, -1, 0
	v_mbcnt_hi_u32_b32 v1, -1, v1
	v_and_b32_e32 v2, 3, v1
	v_mov_b32_e32 v3, 0
	v_lshl_add_u32 v17, v2, 4, v3
	v_add_u32_e32 v6, -1, v1
	v_xor_b32_e32 v2, 2, v2
	v_and_b32_e32 v6, 3, v6
	v_lshl_add_u32 v67, v2, 4, v3
	v_add_u32_e32 v2, 3, v2
	v_lshl_add_u32 v66, v6, 4, v3
	v_and_b32_e32 v6, 3, v2
	v_lshlrev_b32_e32 v2, 4, v2
	v_lshl_add_u32 v68, v6, 4, v3
	v_or_b32_e32 v3, 64, v2
	v_or_b32_e32 v2, 0xc0, v2
	v_add_u32_e32 v69, 0, v3
	v_add_u32_e32 v70, 0, v2
	v_and_b32_e32 v2, 0x60, v1
	v_add_u32_e32 v3, 28, v1
	v_and_or_b32 v3, v3, 31, v2
	v_lshlrev_b32_e32 v71, 2, v3
	v_add_u32_e32 v3, 24, v1
	v_and_or_b32 v3, v3, 31, v2
	v_lshlrev_b32_e32 v72, 2, v3
	;; [unrolled: 3-line block ×3, first 2 shown]
	v_lshlrev_b32_e32 v3, 2, v1
	v_xor_b32_e32 v74, 64, v3
	v_add_u32_e32 v3, 12, v1
	v_and_or_b32 v3, v3, 31, v2
	v_lshlrev_b32_e32 v75, 2, v3
	v_add_u32_e32 v3, 8, v1
	v_and_or_b32 v3, v3, 31, v2
	v_lshlrev_b32_e32 v76, 2, v3
	;; [unrolled: 3-line block ×3, first 2 shown]
	v_lshrrev_b32_e32 v2, 2, v1
	v_add_u32_e32 v6, -1, v2
	v_mov_b32_e32 v3, 0x100
	v_and_b32_e32 v6, 7, v6
	v_bfe_u32 v1, v1, 2, 3
	v_lshl_add_u32 v79, v6, 4, v3
	v_add_u32_e32 v6, 6, v2
	v_add_u32_e32 v2, 5, v2
	v_lshl_add_u32 v78, v1, 4, v3
	v_and_b32_e32 v2, 7, v2
	v_xor_b32_e32 v1, 4, v1
	v_and_b32_e32 v6, 7, v6
	v_lshl_add_u32 v81, v2, 4, v3
	v_add_u32_e32 v2, 7, v1
	v_lshl_add_u32 v80, v6, 4, v3
	v_and_b32_e32 v6, 7, v2
	v_lshl_add_u32 v83, v6, 4, v3
	v_mov_b32_e32 v6, 0x80
	v_lshl_or_b32 v2, v2, 4, v6
	v_add_u32_e32 v84, 0x100, v2
	v_add_u32_e32 v2, 6, v1
	v_lshl_add_u32 v82, v1, 4, v3
	v_and_b32_e32 v7, 7, v2
	v_lshl_or_b32 v2, v2, 4, v6
	v_add_u32_e32 v1, 5, v1
	v_mov_b64_e32 v[38:39], 0
	v_add_u32_e32 v86, 0x100, v2
	v_and_b32_e32 v2, 7, v1
	v_lshl_or_b32 v1, v1, 4, v6
	v_mov_b32_e32 v37, v65
	v_mov_b32_e32 v13, v65
	;; [unrolled: 1-line block ×9, first 2 shown]
	v_lshl_add_u32 v85, v7, 4, v3
	v_lshl_add_u32 v87, v2, 4, v3
	v_add_u32_e32 v88, 0x100, v1
	v_mov_b64_e32 v[14:15], v[38:39]
	v_mov_b64_e32 v[46:47], v[38:39]
	;; [unrolled: 1-line block ×8, first 2 shown]
	v_mov_b32_e32 v18, v65
	v_mov_b32_e32 v19, v65
	;; [unrolled: 1-line block ×6, first 2 shown]
	v_mov_b64_e32 v[34:35], v[38:39]
	v_mov_b32_e32 v21, v65
	v_mov_b32_e32 v22, v65
	;; [unrolled: 1-line block ×9, first 2 shown]
	v_mov_b64_e32 v[62:63], 0
	v_mov_b64_e32 v[60:61], v[64:65]
.LBB51_2:                               ; =>This Inner Loop Header: Depth=1
	s_waitcnt lgkmcnt(0)
	scratch_store_dwordx4 off, v[36:39], off offset:240
	scratch_load_dwordx2 v[38:39], off, off offset:248
	s_nop 0
	scratch_store_dwordx4 off, v[32:35], off offset:64
	scratch_store_dwordx4 off, v[8:11], off offset:176
	scratch_load_dwordx2 v[90:91], off, off offset:184
	v_mov_b32_dpp v44, v44 quad_perm:[3,0,1,2] row_mask:0xf bank_mask:0xf
	v_mov_b32_dpp v45, v45 quad_perm:[3,0,1,2] row_mask:0xf bank_mask:0xf
	v_mov_b32_dpp v46, v46 quad_perm:[3,0,1,2] row_mask:0xf bank_mask:0xf
	v_mov_b32_dpp v47, v47 quad_perm:[3,0,1,2] row_mask:0xf bank_mask:0xf
	v_mov_b32_dpp v36, v36 quad_perm:[1,2,3,0] row_mask:0xf bank_mask:0xf
	v_mov_b32_dpp v37, v37 quad_perm:[1,2,3,0] row_mask:0xf bank_mask:0xf
	scratch_store_dwordx4 off, v[24:27], off offset:128
	scratch_store_dwordx4 off, v[28:31], off offset:192
	v_mov_b32_dpp v10, v12 quad_perm:[2,3,0,1] row_mask:0xf bank_mask:0xf
	v_mov_b32_dpp v24, v56 quad_perm:[3,0,1,2] row_mask:0xf bank_mask:0xf
	;; [unrolled: 1-line block ×8, first 2 shown]
	s_waitcnt vmcnt(8)
	scratch_store_dwordx4 off, v[60:63], off
	scratch_store_dwordx4 off, v[44:47], off offset:208
	scratch_store_dwordx4 off, v[10:13], off offset:224
	v_mov_b32_dpp v28, v16 quad_perm:[2,3,0,1] row_mask:0xf bank_mask:0xf
	v_mov_b32_dpp v29, v65 quad_perm:[2,3,0,1] row_mask:0xf bank_mask:0xf
	;; [unrolled: 1-line block ×8, first 2 shown]
	s_waitcnt vmcnt(10)
	v_mov_b32_dpp v48, v52 quad_perm:[3,0,1,2] row_mask:0xf bank_mask:0xf
	v_mov_b32_dpp v49, v53 quad_perm:[3,0,1,2] row_mask:0xf bank_mask:0xf
	;; [unrolled: 1-line block ×22, first 2 shown]
	s_add_i32 s3, s3, -1
	s_cmp_eq_u32 s3, 0
	s_waitcnt vmcnt(8)
	v_mov_b32_dpp v38, v38 quad_perm:[1,2,3,0] row_mask:0xf bank_mask:0xf
	v_mov_b32_dpp v39, v39 quad_perm:[1,2,3,0] row_mask:0xf bank_mask:0xf
	scratch_store_dwordx4 off, v[36:39], off offset:240
	scratch_load_dwordx4 v[12:15], v66, off offset:192
	s_nop 0
	scratch_store_dwordx4 off, v[24:27], off offset:80
	scratch_store_dwordx4 off, v[28:31], off offset:96
	scratch_store_dwordx4 off, v[32:35], off offset:112
	scratch_load_dwordx4 v[24:27], v69, off
	s_nop 0
	scratch_load_dwordx4 v[0:3], v70, off
	scratch_load_dwordx4 v[28:31], v67, off offset:64
	scratch_load_dwordx4 v[32:35], v17, off offset:64
	s_waitcnt vmcnt(14)
	v_mov_b32_dpp v10, v90 quad_perm:[1,2,3,0] row_mask:0xf bank_mask:0xf
	v_mov_b32_dpp v11, v91 quad_perm:[1,2,3,0] row_mask:0xf bank_mask:0xf
	scratch_store_dwordx4 off, v[40:43], off offset:144
	scratch_load_dwordx4 v[36:39], v66, off offset:64
	s_nop 0
	scratch_store_dwordx4 off, v[4:7], off offset:160
	scratch_store_dwordx4 off, v[48:51], off offset:16
	;; [unrolled: 1-line block ×3, first 2 shown]
	scratch_load_dwordx4 v[4:7], v68, off offset:128
	s_nop 0
	scratch_store_dwordx4 off, v[52:55], off offset:32
	scratch_store_dwordx4 off, v[18:21], off offset:48
	scratch_load_dwordx4 v[8:11], v67, off
	s_nop 0
	scratch_load_dwordx4 v[18:21], v67, off offset:128
	scratch_load_dwordx4 v[40:43], v66, off
	scratch_load_dwordx4 v[44:47], v67, off offset:192
	scratch_load_dwordx4 v[48:51], v68, off
	scratch_load_dwordx4 v[52:55], v17, off offset:128
	scratch_load_dwordx4 v[56:59], v17, off offset:192
	scratch_load_dwordx4 v[60:63], v66, off offset:128
	s_waitcnt vmcnt(3)
	v_mov_b32_dpp v22, v48 quad_perm:[3,0,1,2] row_mask:0xf bank_mask:0xf
	scratch_store_dwordx4 off, v[12:15], off offset:368
	scratch_load_dwordx4 v[12:15], off, off offset:368
	v_mov_b32_dpp v23, v49 quad_perm:[3,0,1,2] row_mask:0xf bank_mask:0xf
	scratch_store_dwordx4 off, v[0:3], off offset:496
	scratch_load_dword v3, off, off offset:508
	s_nop 0
	scratch_load_dwordx4 v[90:93], v17, off
	s_nop 0
	scratch_store_dwordx4 off, v[28:31], off offset:400
	scratch_store_dwordx4 off, v[32:35], off offset:272
	scratch_load_dwordx4 v[28:31], off, off offset:400
	v_mov_b32_dpp v0, v0 quad_perm:[3,0,1,2] row_mask:0xf bank_mask:0xf
	scratch_store_dwordx4 off, v[24:27], off offset:464
	scratch_load_dword v16, off, off offset:476
	v_mov_b32_dpp v32, v36 quad_perm:[1,2,3,0] row_mask:0xf bank_mask:0xf
	scratch_store_dwordx4 off, v[4:7], off offset:480
	scratch_load_dword v7, off, off offset:492
	s_nop 0
	scratch_store_dwordx4 off, v[8:11], off offset:384
	scratch_store_dwordx4 off, v[18:21], off offset:416
	;; [unrolled: 1-line block ×3, first 2 shown]
	scratch_load_dwordx4 v[8:11], off, off offset:416
	v_mov_b32_dpp v18, v40 quad_perm:[1,2,3,0] row_mask:0xf bank_mask:0xf
	v_mov_b32_dpp v19, v41 quad_perm:[1,2,3,0] row_mask:0xf bank_mask:0xf
	;; [unrolled: 1-line block ×4, first 2 shown]
	scratch_load_dwordx4 v[40:43], off, off offset:432
	v_mov_b32_dpp v33, v37 quad_perm:[1,2,3,0] row_mask:0xf bank_mask:0xf
	v_mov_b32_dpp v34, v38 quad_perm:[1,2,3,0] row_mask:0xf bank_mask:0xf
	;; [unrolled: 1-line block ×3, first 2 shown]
	scratch_store_dwordx4 off, v[32:35], off offset:336
	scratch_load_dwordx4 v[36:39], off, off offset:272
	s_waitcnt vmcnt(19)
	v_mov_b32_dpp v44, v60 quad_perm:[1,2,3,0] row_mask:0xf bank_mask:0xf
	scratch_load_dwordx4 v[32:35], off, off offset:336
	v_mov_b32_dpp v45, v61 quad_perm:[1,2,3,0] row_mask:0xf bank_mask:0xf
	scratch_store_dwordx4 off, v[18:21], off offset:320
	scratch_store_dwordx4 off, v[52:55], off offset:288
	;; [unrolled: 1-line block ×3, first 2 shown]
	v_mov_b32_dpp v18, v24 quad_perm:[3,0,1,2] row_mask:0xf bank_mask:0xf
	v_mov_b32_dpp v19, v25 quad_perm:[3,0,1,2] row_mask:0xf bank_mask:0xf
	;; [unrolled: 1-line block ×4, first 2 shown]
	scratch_load_dwordx4 v[52:55], off, off offset:288
	scratch_load_dwordx4 v[56:59], off, off offset:304
	v_mov_b32_dpp v46, v62 quad_perm:[1,2,3,0] row_mask:0xf bank_mask:0xf
	v_mov_b32_dpp v47, v63 quad_perm:[1,2,3,0] row_mask:0xf bank_mask:0xf
	scratch_load_dwordx4 v[48:51], off, off offset:384
	s_nop 0
	scratch_store_dwordx4 off, v[22:25], off offset:448
	scratch_store_dwordx4 off, v[44:47], off offset:352
	scratch_load_dwordx4 v[22:25], off, off offset:320
	v_mov_b32_dpp v1, v1 quad_perm:[3,0,1,2] row_mask:0xf bank_mask:0xf
	scratch_load_dwordx4 v[44:47], off, off offset:352
	v_mov_b32_dpp v2, v2 quad_perm:[3,0,1,2] row_mask:0xf bank_mask:0xf
	v_mov_b32_dpp v20, v26 quad_perm:[3,0,1,2] row_mask:0xf bank_mask:0xf
	;; [unrolled: 1-line block ×5, first 2 shown]
	s_waitcnt vmcnt(28)
	v_mov_b32_dpp v12, v12 quad_perm:[1,2,3,0] row_mask:0xf bank_mask:0xf
	v_mov_b32_dpp v13, v13 quad_perm:[1,2,3,0] row_mask:0xf bank_mask:0xf
	;; [unrolled: 1-line block ×4, first 2 shown]
	s_waitcnt vmcnt(26)
	v_mov_b32_dpp v3, v3 quad_perm:[3,0,1,2] row_mask:0xf bank_mask:0xf
	scratch_store_dwordx4 off, v[12:15], off offset:368
	scratch_store_dwordx4 off, v[0:3], off offset:496
	scratch_load_dwordx4 v[0:3], off, off offset:368
	s_waitcnt vmcnt(25)
	v_mov_b32_dpp v12, v28 quad_perm:[2,3,0,1] row_mask:0xf bank_mask:0xf
	v_mov_b32_dpp v13, v29 quad_perm:[2,3,0,1] row_mask:0xf bank_mask:0xf
	scratch_load_dwordx4 v[26:29], off, off offset:496
	v_mov_b32_dpp v14, v30 quad_perm:[2,3,0,1] row_mask:0xf bank_mask:0xf
	v_mov_b32_dpp v15, v31 quad_perm:[2,3,0,1] row_mask:0xf bank_mask:0xf
	s_waitcnt vmcnt(24)
	v_mov_b32_dpp v21, v16 quad_perm:[3,0,1,2] row_mask:0xf bank_mask:0xf
	scratch_store_dwordx4 off, v[12:15], off offset:400
	scratch_load_dwordx4 v[12:15], off, off offset:400
	s_waitcnt vmcnt(24)
	v_mov_b32_dpp v7, v7 quad_perm:[3,0,1,2] row_mask:0xf bank_mask:0xf
	scratch_store_dwordx4 off, v[18:21], off offset:464
	scratch_store_dwordx4 off, v[4:7], off offset:480
	s_waitcnt vmcnt(22)
	v_mov_b32_dpp v8, v8 quad_perm:[2,3,0,1] row_mask:0xf bank_mask:0xf
	v_mov_b32_dpp v9, v9 quad_perm:[2,3,0,1] row_mask:0xf bank_mask:0xf
	;; [unrolled: 1-line block ×4, first 2 shown]
	s_waitcnt vmcnt(21)
	v_mov_b32_dpp v40, v40 quad_perm:[2,3,0,1] row_mask:0xf bank_mask:0xf
	v_mov_b32_dpp v41, v41 quad_perm:[2,3,0,1] row_mask:0xf bank_mask:0xf
	;; [unrolled: 1-line block ×4, first 2 shown]
	scratch_load_dwordx4 v[4:7], off, off offset:464
	scratch_load_dwordx4 v[60:63], off, off offset:448
	;; [unrolled: 1-line block ×3, first 2 shown]
	s_waitcnt vmcnt(22)
	ds_bpermute_b32 v36, v71, v36
	scratch_store_dwordx4 off, v[8:11], off offset:416
	scratch_store_dwordx4 off, v[40:43], off offset:432
	scratch_load_dwordx4 v[8:11], off, off offset:416
	ds_bpermute_b32 v37, v71, v37
	scratch_load_dwordx4 v[40:43], off, off offset:432
	ds_bpermute_b32 v38, v71, v38
	ds_bpermute_b32 v39, v71, v39
	s_waitcnt vmcnt(25)
	ds_bpermute_b32 v30, v75, v32
	ds_bpermute_b32 v31, v75, v33
	;; [unrolled: 1-line block ×4, first 2 shown]
	scratch_store_dwordx4 off, v[90:93], off offset:256
	s_waitcnt lgkmcnt(4)
	scratch_store_dwordx4 off, v[36:39], off offset:272
	s_waitcnt lgkmcnt(0)
	scratch_store_dwordx4 off, v[30:33], off offset:336
	s_waitcnt vmcnt(24)
	ds_bpermute_b32 v34, v72, v52
	ds_bpermute_b32 v35, v72, v53
	;; [unrolled: 1-line block ×4, first 2 shown]
	s_waitcnt vmcnt(22)
	v_mov_b32_dpp v30, v48 quad_perm:[2,3,0,1] row_mask:0xf bank_mask:0xf
	v_mov_b32_dpp v31, v49 quad_perm:[2,3,0,1] row_mask:0xf bank_mask:0xf
	;; [unrolled: 1-line block ×4, first 2 shown]
	ds_bpermute_b32 v48, v73, v56
	ds_bpermute_b32 v49, v73, v57
	ds_bpermute_b32 v50, v73, v58
	ds_bpermute_b32 v51, v73, v59
	s_waitcnt vmcnt(19)
	ds_bpermute_b32 v22, v74, v22
	ds_bpermute_b32 v23, v74, v23
	;; [unrolled: 1-line block ×4, first 2 shown]
	s_waitcnt vmcnt(18)
	ds_bpermute_b32 v44, v76, v44
	ds_bpermute_b32 v45, v76, v45
	;; [unrolled: 1-line block ×4, first 2 shown]
	scratch_store_dwordx4 off, v[30:33], off offset:384
	s_waitcnt lgkmcnt(12)
	scratch_store_dwordx4 off, v[34:37], off offset:288
	s_waitcnt lgkmcnt(8)
	;; [unrolled: 2-line block ×4, first 2 shown]
	scratch_store_dwordx4 off, v[44:47], off offset:352
	s_waitcnt vmcnt(20)
	ds_bpermute_b32 v0, v77, v0
	ds_bpermute_b32 v1, v77, v1
	ds_bpermute_b32 v2, v77, v2
	ds_bpermute_b32 v3, v77, v3
	s_waitcnt vmcnt(19)
	ds_bpermute_b32 v22, v77, v26
	ds_bpermute_b32 v23, v77, v27
	ds_bpermute_b32 v24, v77, v28
	ds_bpermute_b32 v25, v77, v29
	;; [unrolled: 5-line block ×3, first 2 shown]
	s_waitcnt lgkmcnt(8)
	scratch_store_dwordx4 off, v[0:3], off offset:368
	s_waitcnt lgkmcnt(4)
	scratch_store_dwordx4 off, v[22:25], off offset:496
	scratch_load_dwordx4 v[0:3], v79, off
	s_waitcnt vmcnt(17)
	ds_bpermute_b32 v4, v75, v4
	scratch_load_dwordx4 v[26:29], v80, off
	ds_bpermute_b32 v5, v75, v5
	ds_bpermute_b32 v6, v75, v6
	;; [unrolled: 1-line block ×3, first 2 shown]
	s_waitcnt vmcnt(16)
	ds_bpermute_b32 v18, v76, v18
	ds_bpermute_b32 v19, v76, v19
	;; [unrolled: 1-line block ×4, first 2 shown]
	scratch_load_dwordx4 v[36:39], v81, off
	scratch_load_dwordx4 v[44:47], v82, off
	s_waitcnt vmcnt(14)
	ds_bpermute_b32 v22, v73, v40
	ds_bpermute_b32 v23, v73, v41
	;; [unrolled: 1-line block ×4, first 2 shown]
	scratch_load_dwordx4 v[40:43], v83, off
	scratch_load_dwordx4 v[48:51], v85, off
	scratch_load_dwordx4 v[52:55], v87, off
	ds_bpermute_b32 v8, v72, v8
	ds_bpermute_b32 v9, v72, v9
	;; [unrolled: 1-line block ×8, first 2 shown]
	s_waitcnt lgkmcnt(14)
	scratch_store_dwordx4 off, v[12:15], off offset:400
	scratch_store_dwordx4 off, v[4:7], off offset:464
	s_waitcnt lgkmcnt(12)
	scratch_store_dwordx4 off, v[18:21], off offset:480
	s_waitcnt lgkmcnt(4)
	scratch_store_dwordx4 off, v[8:11], off offset:416
	scratch_store_dwordx4 off, v[22:25], off offset:432
	s_waitcnt lgkmcnt(0)
	scratch_store_dwordx4 off, v[30:33], off offset:448
	scratch_load_dwordx4 v[8:11], v79, off offset:128
	scratch_load_dwordx4 v[56:59], v80, off offset:128
	;; [unrolled: 1-line block ×4, first 2 shown]
	scratch_load_dwordx4 v[94:97], v84, off
	scratch_load_dwordx4 v[98:101], v86, off
	;; [unrolled: 1-line block ×3, first 2 shown]
	s_waitcnt vmcnt(19)
	ds_bpermute_b32 v0, v77, v0
	ds_bpermute_b32 v1, v77, v1
	ds_bpermute_b32 v2, v77, v2
	ds_bpermute_b32 v3, v77, v3
	s_waitcnt vmcnt(18)
	ds_bpermute_b32 v34, v76, v28
	ds_bpermute_b32 v35, v76, v29
	ds_bpermute_b32 v32, v76, v26
	ds_bpermute_b32 v33, v76, v27
	;; [unrolled: 5-line block ×3, first 2 shown]
	s_waitcnt vmcnt(16)
	ds_bpermute_b32 v24, v74, v44
	ds_bpermute_b32 v25, v74, v45
	s_waitcnt vmcnt(14)
	ds_bpermute_b32 v28, v72, v48
	ds_bpermute_b32 v29, v72, v49
	ds_bpermute_b32 v30, v72, v50
	ds_bpermute_b32 v31, v72, v51
	s_waitcnt vmcnt(13)
	ds_bpermute_b32 v12, v71, v52
	ds_bpermute_b32 v13, v71, v53
	ds_bpermute_b32 v14, v71, v54
	ds_bpermute_b32 v15, v71, v55
	s_waitcnt vmcnt(4)
	ds_bpermute_b32 v48, v75, v60
	ds_bpermute_b32 v49, v75, v61
	ds_bpermute_b32 v50, v75, v62
	ds_bpermute_b32 v51, v75, v63
	scratch_load_dwordx4 v[60:63], v78, off
	scratch_load_dwordx4 v[52:55], v78, off offset:128
	ds_bpermute_b32 v26, v74, v46
	ds_bpermute_b32 v27, v74, v47
	;; [unrolled: 1-line block ×14, first 2 shown]
	s_waitcnt vmcnt(5)
	ds_bpermute_b32 v40, v74, v90
	ds_bpermute_b32 v41, v74, v91
	ds_bpermute_b32 v42, v74, v92
	ds_bpermute_b32 v43, v74, v93
	s_waitcnt vmcnt(4)
	ds_bpermute_b32 v8, v73, v94
	ds_bpermute_b32 v9, v73, v95
	ds_bpermute_b32 v10, v73, v96
	ds_bpermute_b32 v11, v73, v97
	s_waitcnt vmcnt(3)
	ds_bpermute_b32 v44, v72, v98
	ds_bpermute_b32 v45, v72, v99
	ds_bpermute_b32 v46, v72, v100
	ds_bpermute_b32 v47, v72, v101
	s_waitcnt vmcnt(2)
	ds_bpermute_b32 v36, v71, v102
	ds_bpermute_b32 v37, v71, v103
	ds_bpermute_b32 v38, v71, v104
	ds_bpermute_b32 v39, v71, v105
	; wave barrier
	s_cbranch_scc0 .LBB51_2
; %bb.3:
	s_waitcnt lgkmcnt(14)
	v_mov_b32_e32 v17, v65
	s_branch .LBB51_5
.LBB51_4:
	v_mov_b64_e32 v[62:63], 0
	v_mov_b64_e32 v[38:39], 0
	v_mov_b32_e32 v53, v65
	v_mov_b32_e32 v1, v65
	;; [unrolled: 1-line block ×13, first 2 shown]
	v_mov_b64_e32 v[60:61], v[64:65]
	v_mov_b64_e32 v[54:55], v[62:63]
	;; [unrolled: 1-line block ×13, first 2 shown]
	v_mov_b32_e32 v45, v65
	v_mov_b64_e32 v[46:47], v[62:63]
	v_mov_b32_e32 v13, v65
	v_mov_b64_e32 v[14:15], v[62:63]
.LBB51_5:
	s_load_dwordx2 s[0:1], s[0:1], 0x0
	v_lshl_or_b32 v64, s2, 12, v64
	v_mov_b32_e32 v65, 0
	s_waitcnt lgkmcnt(0)
	v_lshl_add_u64 v[64:65], v[64:65], 4, s[0:1]
	s_waitcnt vmcnt(1)
	global_store_dwordx4 v[64:65], v[60:63], off
	s_waitcnt vmcnt(1)
	global_store_dwordx4 v[64:65], v[52:55], off offset:16
	global_store_dwordx4 v[64:65], v[0:3], off offset:32
	;; [unrolled: 1-line block ×15, first 2 shown]
	s_endpgm
	.section	.rodata,"a",@progbits
	.p2align	6, 0x0
	.amdhsa_kernel _Z20warp_exchange_kernelILj256ELj16ELj32EN6common25BlockedToStripedShuffleOpEnEvPT3_j
		.amdhsa_group_segment_fixed_size 0
		.amdhsa_private_segment_fixed_size 528
		.amdhsa_kernarg_size 12
		.amdhsa_user_sgpr_count 2
		.amdhsa_user_sgpr_dispatch_ptr 0
		.amdhsa_user_sgpr_queue_ptr 0
		.amdhsa_user_sgpr_kernarg_segment_ptr 1
		.amdhsa_user_sgpr_dispatch_id 0
		.amdhsa_user_sgpr_kernarg_preload_length 0
		.amdhsa_user_sgpr_kernarg_preload_offset 0
		.amdhsa_user_sgpr_private_segment_size 0
		.amdhsa_uses_dynamic_stack 0
		.amdhsa_enable_private_segment 1
		.amdhsa_system_sgpr_workgroup_id_x 1
		.amdhsa_system_sgpr_workgroup_id_y 0
		.amdhsa_system_sgpr_workgroup_id_z 0
		.amdhsa_system_sgpr_workgroup_info 0
		.amdhsa_system_vgpr_workitem_id 0
		.amdhsa_next_free_vgpr 106
		.amdhsa_next_free_sgpr 4
		.amdhsa_accum_offset 108
		.amdhsa_reserve_vcc 0
		.amdhsa_float_round_mode_32 0
		.amdhsa_float_round_mode_16_64 0
		.amdhsa_float_denorm_mode_32 3
		.amdhsa_float_denorm_mode_16_64 3
		.amdhsa_dx10_clamp 1
		.amdhsa_ieee_mode 1
		.amdhsa_fp16_overflow 0
		.amdhsa_tg_split 0
		.amdhsa_exception_fp_ieee_invalid_op 0
		.amdhsa_exception_fp_denorm_src 0
		.amdhsa_exception_fp_ieee_div_zero 0
		.amdhsa_exception_fp_ieee_overflow 0
		.amdhsa_exception_fp_ieee_underflow 0
		.amdhsa_exception_fp_ieee_inexact 0
		.amdhsa_exception_int_div_zero 0
	.end_amdhsa_kernel
	.section	.text._Z20warp_exchange_kernelILj256ELj16ELj32EN6common25BlockedToStripedShuffleOpEnEvPT3_j,"axG",@progbits,_Z20warp_exchange_kernelILj256ELj16ELj32EN6common25BlockedToStripedShuffleOpEnEvPT3_j,comdat
.Lfunc_end51:
	.size	_Z20warp_exchange_kernelILj256ELj16ELj32EN6common25BlockedToStripedShuffleOpEnEvPT3_j, .Lfunc_end51-_Z20warp_exchange_kernelILj256ELj16ELj32EN6common25BlockedToStripedShuffleOpEnEvPT3_j
                                        ; -- End function
	.section	.AMDGPU.csdata,"",@progbits
; Kernel info:
; codeLenInByte = 3756
; NumSgprs: 10
; NumVgprs: 106
; NumAgprs: 0
; TotalNumVgprs: 106
; ScratchSize: 528
; MemoryBound: 0
; FloatMode: 240
; IeeeMode: 1
; LDSByteSize: 0 bytes/workgroup (compile time only)
; SGPRBlocks: 1
; VGPRBlocks: 13
; NumSGPRsForWavesPerEU: 10
; NumVGPRsForWavesPerEU: 106
; AccumOffset: 108
; Occupancy: 4
; WaveLimiterHint : 1
; COMPUTE_PGM_RSRC2:SCRATCH_EN: 1
; COMPUTE_PGM_RSRC2:USER_SGPR: 2
; COMPUTE_PGM_RSRC2:TRAP_HANDLER: 0
; COMPUTE_PGM_RSRC2:TGID_X_EN: 1
; COMPUTE_PGM_RSRC2:TGID_Y_EN: 0
; COMPUTE_PGM_RSRC2:TGID_Z_EN: 0
; COMPUTE_PGM_RSRC2:TIDIG_COMP_CNT: 0
; COMPUTE_PGM_RSRC3_GFX90A:ACCUM_OFFSET: 26
; COMPUTE_PGM_RSRC3_GFX90A:TG_SPLIT: 0
	.section	.text._Z20warp_exchange_kernelILj256ELj1ELj16EN6common25StripedToBlockedShuffleOpEnEvPT3_j,"axG",@progbits,_Z20warp_exchange_kernelILj256ELj1ELj16EN6common25StripedToBlockedShuffleOpEnEvPT3_j,comdat
	.protected	_Z20warp_exchange_kernelILj256ELj1ELj16EN6common25StripedToBlockedShuffleOpEnEvPT3_j ; -- Begin function _Z20warp_exchange_kernelILj256ELj1ELj16EN6common25StripedToBlockedShuffleOpEnEvPT3_j
	.globl	_Z20warp_exchange_kernelILj256ELj1ELj16EN6common25StripedToBlockedShuffleOpEnEvPT3_j
	.p2align	8
	.type	_Z20warp_exchange_kernelILj256ELj1ELj16EN6common25StripedToBlockedShuffleOpEnEvPT3_j,@function
_Z20warp_exchange_kernelILj256ELj1ELj16EN6common25StripedToBlockedShuffleOpEnEvPT3_j: ; @_Z20warp_exchange_kernelILj256ELj1ELj16EN6common25StripedToBlockedShuffleOpEnEvPT3_j
; %bb.0:
	s_load_dword s3, s[0:1], 0x8
	v_mov_b32_e32 v5, 0
	s_waitcnt lgkmcnt(0)
	s_cmp_eq_u32 s3, 0
	s_cbranch_scc1 .LBB52_3
; %bb.1:
	v_mbcnt_lo_u32_b32 v1, -1, 0
	v_mbcnt_hi_u32_b32 v1, -1, v1
	v_lshlrev_b32_e32 v1, 2, v1
	v_mov_b32_e32 v2, v0
	v_mov_b32_e32 v3, 0
	;; [unrolled: 1-line block ×3, first 2 shown]
.LBB52_2:                               ; =>This Inner Loop Header: Depth=1
	s_waitcnt lgkmcnt(3)
	ds_bpermute_b32 v2, v1, v2
	s_waitcnt lgkmcnt(3)
	ds_bpermute_b32 v3, v1, v3
	;; [unrolled: 2-line block ×4, first 2 shown]
	s_add_i32 s3, s3, -1
	s_cmp_lg_u32 s3, 0
	; wave barrier
	s_cbranch_scc1 .LBB52_2
	s_branch .LBB52_4
.LBB52_3:
	v_mov_b32_e32 v2, v0
	v_mov_b32_e32 v3, 0
	;; [unrolled: 1-line block ×3, first 2 shown]
.LBB52_4:
	s_load_dwordx2 s[0:1], s[0:1], 0x0
	v_lshl_or_b32 v0, s2, 8, v0
	v_mov_b32_e32 v1, 0
	s_waitcnt lgkmcnt(0)
	v_lshl_add_u64 v[0:1], v[0:1], 4, s[0:1]
	global_store_dwordx4 v[0:1], v[2:5], off
	s_endpgm
	.section	.rodata,"a",@progbits
	.p2align	6, 0x0
	.amdhsa_kernel _Z20warp_exchange_kernelILj256ELj1ELj16EN6common25StripedToBlockedShuffleOpEnEvPT3_j
		.amdhsa_group_segment_fixed_size 0
		.amdhsa_private_segment_fixed_size 0
		.amdhsa_kernarg_size 12
		.amdhsa_user_sgpr_count 2
		.amdhsa_user_sgpr_dispatch_ptr 0
		.amdhsa_user_sgpr_queue_ptr 0
		.amdhsa_user_sgpr_kernarg_segment_ptr 1
		.amdhsa_user_sgpr_dispatch_id 0
		.amdhsa_user_sgpr_kernarg_preload_length 0
		.amdhsa_user_sgpr_kernarg_preload_offset 0
		.amdhsa_user_sgpr_private_segment_size 0
		.amdhsa_uses_dynamic_stack 0
		.amdhsa_enable_private_segment 0
		.amdhsa_system_sgpr_workgroup_id_x 1
		.amdhsa_system_sgpr_workgroup_id_y 0
		.amdhsa_system_sgpr_workgroup_id_z 0
		.amdhsa_system_sgpr_workgroup_info 0
		.amdhsa_system_vgpr_workitem_id 0
		.amdhsa_next_free_vgpr 6
		.amdhsa_next_free_sgpr 4
		.amdhsa_accum_offset 8
		.amdhsa_reserve_vcc 0
		.amdhsa_float_round_mode_32 0
		.amdhsa_float_round_mode_16_64 0
		.amdhsa_float_denorm_mode_32 3
		.amdhsa_float_denorm_mode_16_64 3
		.amdhsa_dx10_clamp 1
		.amdhsa_ieee_mode 1
		.amdhsa_fp16_overflow 0
		.amdhsa_tg_split 0
		.amdhsa_exception_fp_ieee_invalid_op 0
		.amdhsa_exception_fp_denorm_src 0
		.amdhsa_exception_fp_ieee_div_zero 0
		.amdhsa_exception_fp_ieee_overflow 0
		.amdhsa_exception_fp_ieee_underflow 0
		.amdhsa_exception_fp_ieee_inexact 0
		.amdhsa_exception_int_div_zero 0
	.end_amdhsa_kernel
	.section	.text._Z20warp_exchange_kernelILj256ELj1ELj16EN6common25StripedToBlockedShuffleOpEnEvPT3_j,"axG",@progbits,_Z20warp_exchange_kernelILj256ELj1ELj16EN6common25StripedToBlockedShuffleOpEnEvPT3_j,comdat
.Lfunc_end52:
	.size	_Z20warp_exchange_kernelILj256ELj1ELj16EN6common25StripedToBlockedShuffleOpEnEvPT3_j, .Lfunc_end52-_Z20warp_exchange_kernelILj256ELj1ELj16EN6common25StripedToBlockedShuffleOpEnEvPT3_j
                                        ; -- End function
	.section	.AMDGPU.csdata,"",@progbits
; Kernel info:
; codeLenInByte = 176
; NumSgprs: 10
; NumVgprs: 6
; NumAgprs: 0
; TotalNumVgprs: 6
; ScratchSize: 0
; MemoryBound: 0
; FloatMode: 240
; IeeeMode: 1
; LDSByteSize: 0 bytes/workgroup (compile time only)
; SGPRBlocks: 1
; VGPRBlocks: 0
; NumSGPRsForWavesPerEU: 10
; NumVGPRsForWavesPerEU: 6
; AccumOffset: 8
; Occupancy: 8
; WaveLimiterHint : 0
; COMPUTE_PGM_RSRC2:SCRATCH_EN: 0
; COMPUTE_PGM_RSRC2:USER_SGPR: 2
; COMPUTE_PGM_RSRC2:TRAP_HANDLER: 0
; COMPUTE_PGM_RSRC2:TGID_X_EN: 1
; COMPUTE_PGM_RSRC2:TGID_Y_EN: 0
; COMPUTE_PGM_RSRC2:TGID_Z_EN: 0
; COMPUTE_PGM_RSRC2:TIDIG_COMP_CNT: 0
; COMPUTE_PGM_RSRC3_GFX90A:ACCUM_OFFSET: 1
; COMPUTE_PGM_RSRC3_GFX90A:TG_SPLIT: 0
	.section	.text._Z20warp_exchange_kernelILj256ELj1ELj32EN6common25StripedToBlockedShuffleOpEnEvPT3_j,"axG",@progbits,_Z20warp_exchange_kernelILj256ELj1ELj32EN6common25StripedToBlockedShuffleOpEnEvPT3_j,comdat
	.protected	_Z20warp_exchange_kernelILj256ELj1ELj32EN6common25StripedToBlockedShuffleOpEnEvPT3_j ; -- Begin function _Z20warp_exchange_kernelILj256ELj1ELj32EN6common25StripedToBlockedShuffleOpEnEvPT3_j
	.globl	_Z20warp_exchange_kernelILj256ELj1ELj32EN6common25StripedToBlockedShuffleOpEnEvPT3_j
	.p2align	8
	.type	_Z20warp_exchange_kernelILj256ELj1ELj32EN6common25StripedToBlockedShuffleOpEnEvPT3_j,@function
_Z20warp_exchange_kernelILj256ELj1ELj32EN6common25StripedToBlockedShuffleOpEnEvPT3_j: ; @_Z20warp_exchange_kernelILj256ELj1ELj32EN6common25StripedToBlockedShuffleOpEnEvPT3_j
; %bb.0:
	s_load_dword s3, s[0:1], 0x8
	v_mov_b32_e32 v5, 0
	s_waitcnt lgkmcnt(0)
	s_cmp_eq_u32 s3, 0
	s_cbranch_scc1 .LBB53_3
; %bb.1:
	v_mbcnt_lo_u32_b32 v1, -1, 0
	v_mbcnt_hi_u32_b32 v1, -1, v1
	v_lshlrev_b32_e32 v1, 2, v1
	v_mov_b32_e32 v2, v0
	v_mov_b32_e32 v3, 0
	;; [unrolled: 1-line block ×3, first 2 shown]
.LBB53_2:                               ; =>This Inner Loop Header: Depth=1
	s_waitcnt lgkmcnt(3)
	ds_bpermute_b32 v2, v1, v2
	s_waitcnt lgkmcnt(3)
	ds_bpermute_b32 v3, v1, v3
	;; [unrolled: 2-line block ×4, first 2 shown]
	s_add_i32 s3, s3, -1
	s_cmp_lg_u32 s3, 0
	; wave barrier
	s_cbranch_scc1 .LBB53_2
	s_branch .LBB53_4
.LBB53_3:
	v_mov_b32_e32 v2, v0
	v_mov_b32_e32 v3, 0
	v_mov_b32_e32 v4, 0
.LBB53_4:
	s_load_dwordx2 s[0:1], s[0:1], 0x0
	v_lshl_or_b32 v0, s2, 8, v0
	v_mov_b32_e32 v1, 0
	s_waitcnt lgkmcnt(0)
	v_lshl_add_u64 v[0:1], v[0:1], 4, s[0:1]
	global_store_dwordx4 v[0:1], v[2:5], off
	s_endpgm
	.section	.rodata,"a",@progbits
	.p2align	6, 0x0
	.amdhsa_kernel _Z20warp_exchange_kernelILj256ELj1ELj32EN6common25StripedToBlockedShuffleOpEnEvPT3_j
		.amdhsa_group_segment_fixed_size 0
		.amdhsa_private_segment_fixed_size 0
		.amdhsa_kernarg_size 12
		.amdhsa_user_sgpr_count 2
		.amdhsa_user_sgpr_dispatch_ptr 0
		.amdhsa_user_sgpr_queue_ptr 0
		.amdhsa_user_sgpr_kernarg_segment_ptr 1
		.amdhsa_user_sgpr_dispatch_id 0
		.amdhsa_user_sgpr_kernarg_preload_length 0
		.amdhsa_user_sgpr_kernarg_preload_offset 0
		.amdhsa_user_sgpr_private_segment_size 0
		.amdhsa_uses_dynamic_stack 0
		.amdhsa_enable_private_segment 0
		.amdhsa_system_sgpr_workgroup_id_x 1
		.amdhsa_system_sgpr_workgroup_id_y 0
		.amdhsa_system_sgpr_workgroup_id_z 0
		.amdhsa_system_sgpr_workgroup_info 0
		.amdhsa_system_vgpr_workitem_id 0
		.amdhsa_next_free_vgpr 6
		.amdhsa_next_free_sgpr 4
		.amdhsa_accum_offset 8
		.amdhsa_reserve_vcc 0
		.amdhsa_float_round_mode_32 0
		.amdhsa_float_round_mode_16_64 0
		.amdhsa_float_denorm_mode_32 3
		.amdhsa_float_denorm_mode_16_64 3
		.amdhsa_dx10_clamp 1
		.amdhsa_ieee_mode 1
		.amdhsa_fp16_overflow 0
		.amdhsa_tg_split 0
		.amdhsa_exception_fp_ieee_invalid_op 0
		.amdhsa_exception_fp_denorm_src 0
		.amdhsa_exception_fp_ieee_div_zero 0
		.amdhsa_exception_fp_ieee_overflow 0
		.amdhsa_exception_fp_ieee_underflow 0
		.amdhsa_exception_fp_ieee_inexact 0
		.amdhsa_exception_int_div_zero 0
	.end_amdhsa_kernel
	.section	.text._Z20warp_exchange_kernelILj256ELj1ELj32EN6common25StripedToBlockedShuffleOpEnEvPT3_j,"axG",@progbits,_Z20warp_exchange_kernelILj256ELj1ELj32EN6common25StripedToBlockedShuffleOpEnEvPT3_j,comdat
.Lfunc_end53:
	.size	_Z20warp_exchange_kernelILj256ELj1ELj32EN6common25StripedToBlockedShuffleOpEnEvPT3_j, .Lfunc_end53-_Z20warp_exchange_kernelILj256ELj1ELj32EN6common25StripedToBlockedShuffleOpEnEvPT3_j
                                        ; -- End function
	.section	.AMDGPU.csdata,"",@progbits
; Kernel info:
; codeLenInByte = 176
; NumSgprs: 10
; NumVgprs: 6
; NumAgprs: 0
; TotalNumVgprs: 6
; ScratchSize: 0
; MemoryBound: 0
; FloatMode: 240
; IeeeMode: 1
; LDSByteSize: 0 bytes/workgroup (compile time only)
; SGPRBlocks: 1
; VGPRBlocks: 0
; NumSGPRsForWavesPerEU: 10
; NumVGPRsForWavesPerEU: 6
; AccumOffset: 8
; Occupancy: 8
; WaveLimiterHint : 0
; COMPUTE_PGM_RSRC2:SCRATCH_EN: 0
; COMPUTE_PGM_RSRC2:USER_SGPR: 2
; COMPUTE_PGM_RSRC2:TRAP_HANDLER: 0
; COMPUTE_PGM_RSRC2:TGID_X_EN: 1
; COMPUTE_PGM_RSRC2:TGID_Y_EN: 0
; COMPUTE_PGM_RSRC2:TGID_Z_EN: 0
; COMPUTE_PGM_RSRC2:TIDIG_COMP_CNT: 0
; COMPUTE_PGM_RSRC3_GFX90A:ACCUM_OFFSET: 1
; COMPUTE_PGM_RSRC3_GFX90A:TG_SPLIT: 0
	.section	.text._Z20warp_exchange_kernelILj256ELj4ELj16EN6common25StripedToBlockedShuffleOpEnEvPT3_j,"axG",@progbits,_Z20warp_exchange_kernelILj256ELj4ELj16EN6common25StripedToBlockedShuffleOpEnEvPT3_j,comdat
	.protected	_Z20warp_exchange_kernelILj256ELj4ELj16EN6common25StripedToBlockedShuffleOpEnEvPT3_j ; -- Begin function _Z20warp_exchange_kernelILj256ELj4ELj16EN6common25StripedToBlockedShuffleOpEnEvPT3_j
	.globl	_Z20warp_exchange_kernelILj256ELj4ELj16EN6common25StripedToBlockedShuffleOpEnEvPT3_j
	.p2align	8
	.type	_Z20warp_exchange_kernelILj256ELj4ELj16EN6common25StripedToBlockedShuffleOpEnEvPT3_j,@function
_Z20warp_exchange_kernelILj256ELj4ELj16EN6common25StripedToBlockedShuffleOpEnEvPT3_j: ; @_Z20warp_exchange_kernelILj256ELj4ELj16EN6common25StripedToBlockedShuffleOpEnEvPT3_j
; %bb.0:
	s_load_dword s3, s[0:1], 0x8
	v_lshlrev_b32_e32 v16, 2, v0
	v_or_b32_e32 v12, 1, v16
	v_or_b32_e32 v4, 2, v16
	;; [unrolled: 1-line block ×3, first 2 shown]
	s_waitcnt lgkmcnt(0)
	s_cmp_eq_u32 s3, 0
	s_cbranch_scc1 .LBB54_3
; %bb.1:
	v_mbcnt_lo_u32_b32 v6, -1, 0
	v_mbcnt_hi_u32_b32 v6, -1, v6
	v_and_b32_e32 v7, 0x70, v6
	v_add_u32_e32 v8, 12, v6
	v_and_or_b32 v8, v8, 15, v7
	v_lshlrev_b32_e32 v18, 2, v8
	v_lshlrev_b32_e32 v8, 2, v6
	v_xor_b32_e32 v19, 32, v8
	v_add_u32_e32 v8, 4, v6
	v_and_or_b32 v7, v8, 15, v7
	v_lshlrev_b32_e32 v20, 2, v7
	v_lshrrev_b32_e32 v7, 2, v6
	v_add_u32_e32 v7, -1, v7
	v_bfe_u32 v8, v6, 2, 2
	v_mov_b32_e32 v9, 0
	v_and_b32_e32 v7, 3, v7
	v_lshl_add_u32 v22, v7, 4, v9
	v_xor_b32_e32 v7, 2, v8
	v_lshl_add_u32 v23, v7, 4, v9
	v_add_u32_e32 v7, -1, v7
	v_and_b32_e32 v7, 3, v7
	v_lshl_add_u32 v24, v7, 4, v9
	v_and_b32_e32 v7, 3, v6
	v_add_u32_e32 v6, -1, v6
	v_lshl_add_u32 v21, v8, 4, v9
	v_mov_b32_e32 v8, 64
	v_and_b32_e32 v6, 3, v6
	v_lshl_add_u32 v26, v6, 4, v8
	v_xor_b32_e32 v6, 2, v7
	v_mov_b32_e32 v1, 0
	v_lshl_add_u32 v27, v6, 4, v8
	v_add_u32_e32 v6, -1, v6
	v_mov_b64_e32 v[2:3], 0
	v_mov_b32_e32 v17, v1
	v_and_b32_e32 v6, 3, v6
	v_mov_b64_e32 v[10:11], 0
	v_mov_b32_e32 v5, v1
	v_mov_b32_e32 v13, v1
	v_lshl_add_u32 v25, v7, 4, v8
	v_lshl_add_u32 v28, v6, 4, v8
	v_mov_b64_e32 v[6:7], v[2:3]
	v_mov_b64_e32 v[14:15], v[2:3]
	;; [unrolled: 1-line block ×3, first 2 shown]
.LBB54_2:                               ; =>This Inner Loop Header: Depth=1
	s_waitcnt vmcnt(0)
	scratch_store_dwordx4 off, v[8:11], off
	scratch_store_dwordx4 off, v[12:15], off offset:16
	scratch_store_dwordx4 off, v[4:7], off offset:32
	ds_bpermute_b32 v12, v18, v12
	ds_bpermute_b32 v13, v18, v13
	;; [unrolled: 1-line block ×12, first 2 shown]
	scratch_store_dwordx4 off, v[0:3], off offset:48
	scratch_store_dwordx4 v21, v[8:11], off
	s_waitcnt lgkmcnt(8)
	scratch_store_dwordx4 v22, v[12:15], off
	s_waitcnt lgkmcnt(4)
	;; [unrolled: 2-line block ×3, first 2 shown]
	scratch_store_dwordx4 v24, v[30:33], off
	scratch_load_dwordx4 v[0:3], off, off offset:16
	scratch_load_dwordx4 v[4:7], off, off offset:32
	;; [unrolled: 1-line block ×3, first 2 shown]
	scratch_load_dwordx4 v[12:15], off, off
	s_add_i32 s3, s3, -1
	s_cmp_lg_u32 s3, 0
	s_waitcnt vmcnt(3)
	ds_bpermute_b32 v0, v20, v0
	ds_bpermute_b32 v1, v20, v1
	ds_bpermute_b32 v2, v20, v2
	ds_bpermute_b32 v3, v20, v3
	s_waitcnt vmcnt(2)
	ds_bpermute_b32 v4, v19, v4
	ds_bpermute_b32 v5, v19, v5
	ds_bpermute_b32 v6, v19, v6
	ds_bpermute_b32 v7, v19, v7
	;; [unrolled: 5-line block ×3, first 2 shown]
	s_waitcnt lgkmcnt(11)
	v_mov_b32_dpp v0, v0 quad_perm:[3,0,1,2] row_mask:0xf bank_mask:0xf
	s_waitcnt lgkmcnt(10)
	v_mov_b32_dpp v1, v1 quad_perm:[3,0,1,2] row_mask:0xf bank_mask:0xf
	;; [unrolled: 2-line block ×4, first 2 shown]
	s_waitcnt vmcnt(0)
	scratch_store_dwordx4 v25, v[12:15], off
	s_waitcnt lgkmcnt(7)
	v_mov_b32_dpp v4, v4 quad_perm:[2,3,0,1] row_mask:0xf bank_mask:0xf
	s_waitcnt lgkmcnt(6)
	v_mov_b32_dpp v5, v5 quad_perm:[2,3,0,1] row_mask:0xf bank_mask:0xf
	;; [unrolled: 2-line block ×8, first 2 shown]
	scratch_store_dwordx4 v26, v[0:3], off
	scratch_store_dwordx4 v27, v[4:7], off
	;; [unrolled: 1-line block ×3, first 2 shown]
	scratch_load_dwordx4 v[0:3], off, off offset:80
	s_nop 0
	scratch_load_dwordx4 v[4:7], off, off offset:96
	scratch_load_dwordx4 v[30:33], off, off offset:112
	;; [unrolled: 1-line block ×3, first 2 shown]
	; wave barrier
	s_waitcnt vmcnt(3)
	v_mov_b32_dpp v12, v0 quad_perm:[1,2,3,0] row_mask:0xf bank_mask:0xf
	v_mov_b32_dpp v13, v1 quad_perm:[1,2,3,0] row_mask:0xf bank_mask:0xf
	v_mov_b32_dpp v14, v2 quad_perm:[1,2,3,0] row_mask:0xf bank_mask:0xf
	v_mov_b32_dpp v15, v3 quad_perm:[1,2,3,0] row_mask:0xf bank_mask:0xf
	s_waitcnt vmcnt(2)
	v_mov_b32_dpp v4, v4 quad_perm:[2,3,0,1] row_mask:0xf bank_mask:0xf
	v_mov_b32_dpp v5, v5 quad_perm:[2,3,0,1] row_mask:0xf bank_mask:0xf
	v_mov_b32_dpp v6, v6 quad_perm:[2,3,0,1] row_mask:0xf bank_mask:0xf
	v_mov_b32_dpp v7, v7 quad_perm:[2,3,0,1] row_mask:0xf bank_mask:0xf
	;; [unrolled: 5-line block ×3, first 2 shown]
	s_cbranch_scc1 .LBB54_2
	s_branch .LBB54_4
.LBB54_3:
	v_mov_b32_e32 v17, 0
	v_mov_b64_e32 v[10:11], 0
	v_mov_b64_e32 v[2:3], 0
	v_mov_b32_e32 v13, v17
	v_mov_b32_e32 v5, v17
	;; [unrolled: 1-line block ×3, first 2 shown]
	v_mov_b64_e32 v[8:9], v[16:17]
	v_mov_b64_e32 v[14:15], v[10:11]
	;; [unrolled: 1-line block ×3, first 2 shown]
.LBB54_4:
	s_load_dwordx2 s[0:1], s[0:1], 0x0
	v_lshl_or_b32 v16, s2, 10, v16
	v_mov_b32_e32 v17, 0
	s_waitcnt lgkmcnt(0)
	v_lshl_add_u64 v[16:17], v[16:17], 4, s[0:1]
	s_waitcnt vmcnt(0)
	global_store_dwordx4 v[16:17], v[8:11], off
	global_store_dwordx4 v[16:17], v[12:15], off offset:16
	global_store_dwordx4 v[16:17], v[4:7], off offset:32
	;; [unrolled: 1-line block ×3, first 2 shown]
	s_endpgm
	.section	.rodata,"a",@progbits
	.p2align	6, 0x0
	.amdhsa_kernel _Z20warp_exchange_kernelILj256ELj4ELj16EN6common25StripedToBlockedShuffleOpEnEvPT3_j
		.amdhsa_group_segment_fixed_size 0
		.amdhsa_private_segment_fixed_size 144
		.amdhsa_kernarg_size 12
		.amdhsa_user_sgpr_count 2
		.amdhsa_user_sgpr_dispatch_ptr 0
		.amdhsa_user_sgpr_queue_ptr 0
		.amdhsa_user_sgpr_kernarg_segment_ptr 1
		.amdhsa_user_sgpr_dispatch_id 0
		.amdhsa_user_sgpr_kernarg_preload_length 0
		.amdhsa_user_sgpr_kernarg_preload_offset 0
		.amdhsa_user_sgpr_private_segment_size 0
		.amdhsa_uses_dynamic_stack 0
		.amdhsa_enable_private_segment 1
		.amdhsa_system_sgpr_workgroup_id_x 1
		.amdhsa_system_sgpr_workgroup_id_y 0
		.amdhsa_system_sgpr_workgroup_id_z 0
		.amdhsa_system_sgpr_workgroup_info 0
		.amdhsa_system_vgpr_workitem_id 0
		.amdhsa_next_free_vgpr 34
		.amdhsa_next_free_sgpr 4
		.amdhsa_accum_offset 36
		.amdhsa_reserve_vcc 0
		.amdhsa_float_round_mode_32 0
		.amdhsa_float_round_mode_16_64 0
		.amdhsa_float_denorm_mode_32 3
		.amdhsa_float_denorm_mode_16_64 3
		.amdhsa_dx10_clamp 1
		.amdhsa_ieee_mode 1
		.amdhsa_fp16_overflow 0
		.amdhsa_tg_split 0
		.amdhsa_exception_fp_ieee_invalid_op 0
		.amdhsa_exception_fp_denorm_src 0
		.amdhsa_exception_fp_ieee_div_zero 0
		.amdhsa_exception_fp_ieee_overflow 0
		.amdhsa_exception_fp_ieee_underflow 0
		.amdhsa_exception_fp_ieee_inexact 0
		.amdhsa_exception_int_div_zero 0
	.end_amdhsa_kernel
	.section	.text._Z20warp_exchange_kernelILj256ELj4ELj16EN6common25StripedToBlockedShuffleOpEnEvPT3_j,"axG",@progbits,_Z20warp_exchange_kernelILj256ELj4ELj16EN6common25StripedToBlockedShuffleOpEnEvPT3_j,comdat
.Lfunc_end54:
	.size	_Z20warp_exchange_kernelILj256ELj4ELj16EN6common25StripedToBlockedShuffleOpEnEvPT3_j, .Lfunc_end54-_Z20warp_exchange_kernelILj256ELj4ELj16EN6common25StripedToBlockedShuffleOpEnEvPT3_j
                                        ; -- End function
	.section	.AMDGPU.csdata,"",@progbits
; Kernel info:
; codeLenInByte = 1028
; NumSgprs: 10
; NumVgprs: 34
; NumAgprs: 0
; TotalNumVgprs: 34
; ScratchSize: 144
; MemoryBound: 0
; FloatMode: 240
; IeeeMode: 1
; LDSByteSize: 0 bytes/workgroup (compile time only)
; SGPRBlocks: 1
; VGPRBlocks: 4
; NumSGPRsForWavesPerEU: 10
; NumVGPRsForWavesPerEU: 34
; AccumOffset: 36
; Occupancy: 8
; WaveLimiterHint : 0
; COMPUTE_PGM_RSRC2:SCRATCH_EN: 1
; COMPUTE_PGM_RSRC2:USER_SGPR: 2
; COMPUTE_PGM_RSRC2:TRAP_HANDLER: 0
; COMPUTE_PGM_RSRC2:TGID_X_EN: 1
; COMPUTE_PGM_RSRC2:TGID_Y_EN: 0
; COMPUTE_PGM_RSRC2:TGID_Z_EN: 0
; COMPUTE_PGM_RSRC2:TIDIG_COMP_CNT: 0
; COMPUTE_PGM_RSRC3_GFX90A:ACCUM_OFFSET: 8
; COMPUTE_PGM_RSRC3_GFX90A:TG_SPLIT: 0
	.section	.text._Z20warp_exchange_kernelILj256ELj4ELj32EN6common25StripedToBlockedShuffleOpEnEvPT3_j,"axG",@progbits,_Z20warp_exchange_kernelILj256ELj4ELj32EN6common25StripedToBlockedShuffleOpEnEvPT3_j,comdat
	.protected	_Z20warp_exchange_kernelILj256ELj4ELj32EN6common25StripedToBlockedShuffleOpEnEvPT3_j ; -- Begin function _Z20warp_exchange_kernelILj256ELj4ELj32EN6common25StripedToBlockedShuffleOpEnEvPT3_j
	.globl	_Z20warp_exchange_kernelILj256ELj4ELj32EN6common25StripedToBlockedShuffleOpEnEvPT3_j
	.p2align	8
	.type	_Z20warp_exchange_kernelILj256ELj4ELj32EN6common25StripedToBlockedShuffleOpEnEvPT3_j,@function
_Z20warp_exchange_kernelILj256ELj4ELj32EN6common25StripedToBlockedShuffleOpEnEvPT3_j: ; @_Z20warp_exchange_kernelILj256ELj4ELj32EN6common25StripedToBlockedShuffleOpEnEvPT3_j
; %bb.0:
	s_load_dword s3, s[0:1], 0x8
	v_lshlrev_b32_e32 v16, 2, v0
	v_mov_b32_e32 v17, 0
	v_or_b32_e32 v22, 1, v16
	v_or_b32_e32 v20, 2, v16
	s_waitcnt lgkmcnt(0)
	s_cmp_eq_u32 s3, 0
	v_or_b32_e32 v18, 3, v16
	s_cbranch_scc1 .LBB55_27
; %bb.1:
	v_mbcnt_lo_u32_b32 v0, -1, 0
	v_mbcnt_hi_u32_b32 v0, -1, v0
	v_lshlrev_b32_e32 v2, 2, v0
	v_and_b32_e32 v3, 0x60, v0
	v_and_or_b32 v2, v2, 28, v3
	v_and_b32_e32 v1, 31, v0
	v_bfe_u32 v0, v0, 3, 2
	v_lshlrev_b32_e32 v26, 2, v2
	v_cmp_gt_u32_e32 vcc, 8, v1
	v_cmp_eq_u32_e64 s[8:9], 1, v0
	v_cmp_eq_u32_e64 s[4:5], 2, v0
	;; [unrolled: 1-line block ×3, first 2 shown]
	v_or_b32_e32 v27, 4, v26
	v_or_b32_e32 v28, 8, v26
	;; [unrolled: 1-line block ×3, first 2 shown]
	v_mov_b32_e32 v30, 0
	v_mov_b32_e32 v31, 0
	;; [unrolled: 1-line block ×12, first 2 shown]
	s_branch .LBB55_3
.LBB55_2:                               ;   in Loop: Header=BB55_3 Depth=1
	s_or_b64 exec, exec, s[10:11]
	s_add_i32 s3, s3, -1
	s_cmp_lg_u32 s3, 0
	s_waitcnt lgkmcnt(3)
	v_mov_b32_e32 v18, v12
	v_mov_b32_e32 v17, v13
	;; [unrolled: 1-line block ×4, first 2 shown]
	s_waitcnt lgkmcnt(1)
	v_mov_b32_e32 v20, v8
	v_mov_b32_e32 v19, v9
	;; [unrolled: 1-line block ×5, first 2 shown]
	s_waitcnt lgkmcnt(0)
	v_mov_b32_e32 v21, v5
	v_mov_b32_e32 v24, v6
	;; [unrolled: 1-line block ×7, first 2 shown]
	; wave barrier
	s_cbranch_scc0 .LBB55_28
.LBB55_3:                               ; =>This Inner Loop Header: Depth=1
	ds_bpermute_b32 v0, v26, v23
	ds_bpermute_b32 v1, v26, v34
	;; [unrolled: 1-line block ×4, first 2 shown]
	s_and_saveexec_b64 s[10:11], vcc
	s_or_b64 exec, exec, s[10:11]
	ds_bpermute_b32 v4, v26, v22
	ds_bpermute_b32 v5, v26, v21
	;; [unrolled: 1-line block ×4, first 2 shown]
	s_and_saveexec_b64 s[10:11], s[8:9]
	s_cbranch_execz .LBB55_5
; %bb.4:                                ;   in Loop: Header=BB55_3 Depth=1
	s_waitcnt lgkmcnt(2)
	v_mov_b64_e32 v[0:1], v[4:5]
	s_waitcnt lgkmcnt(0)
	v_mov_b64_e32 v[2:3], v[6:7]
.LBB55_5:                               ;   in Loop: Header=BB55_3 Depth=1
	s_or_b64 exec, exec, s[10:11]
	s_waitcnt lgkmcnt(3)
	ds_bpermute_b32 v4, v26, v20
	s_waitcnt lgkmcnt(3)
	ds_bpermute_b32 v5, v26, v19
	s_waitcnt lgkmcnt(3)
	ds_bpermute_b32 v6, v26, v32
	s_waitcnt lgkmcnt(3)
	ds_bpermute_b32 v7, v26, v33
	s_and_saveexec_b64 s[10:11], s[4:5]
	s_cbranch_execz .LBB55_7
; %bb.6:                                ;   in Loop: Header=BB55_3 Depth=1
	s_waitcnt lgkmcnt(2)
	v_mov_b64_e32 v[0:1], v[4:5]
	s_waitcnt lgkmcnt(0)
	v_mov_b64_e32 v[2:3], v[6:7]
.LBB55_7:                               ;   in Loop: Header=BB55_3 Depth=1
	s_or_b64 exec, exec, s[10:11]
	s_waitcnt lgkmcnt(3)
	ds_bpermute_b32 v4, v26, v18
	s_waitcnt lgkmcnt(3)
	ds_bpermute_b32 v5, v26, v17
	s_waitcnt lgkmcnt(3)
	ds_bpermute_b32 v6, v26, v30
	s_waitcnt lgkmcnt(3)
	ds_bpermute_b32 v7, v26, v31
	s_and_saveexec_b64 s[10:11], s[6:7]
	s_cbranch_execz .LBB55_9
; %bb.8:                                ;   in Loop: Header=BB55_3 Depth=1
	s_waitcnt lgkmcnt(2)
	v_mov_b64_e32 v[0:1], v[4:5]
	s_waitcnt lgkmcnt(0)
	v_mov_b64_e32 v[2:3], v[6:7]
.LBB55_9:                               ;   in Loop: Header=BB55_3 Depth=1
	s_or_b64 exec, exec, s[10:11]
	s_waitcnt lgkmcnt(3)
	ds_bpermute_b32 v4, v27, v23
	s_waitcnt lgkmcnt(3)
	ds_bpermute_b32 v5, v27, v34
	s_waitcnt lgkmcnt(3)
	ds_bpermute_b32 v6, v27, v35
	s_waitcnt lgkmcnt(3)
	ds_bpermute_b32 v7, v27, v36
	s_and_saveexec_b64 s[10:11], vcc
	s_or_b64 exec, exec, s[10:11]
	ds_bpermute_b32 v8, v27, v22
	ds_bpermute_b32 v9, v27, v21
	;; [unrolled: 1-line block ×4, first 2 shown]
	s_and_saveexec_b64 s[10:11], s[8:9]
	s_cbranch_execz .LBB55_11
; %bb.10:                               ;   in Loop: Header=BB55_3 Depth=1
	s_waitcnt lgkmcnt(2)
	v_mov_b64_e32 v[4:5], v[8:9]
	s_waitcnt lgkmcnt(0)
	v_mov_b64_e32 v[6:7], v[10:11]
.LBB55_11:                              ;   in Loop: Header=BB55_3 Depth=1
	s_or_b64 exec, exec, s[10:11]
	s_waitcnt lgkmcnt(3)
	ds_bpermute_b32 v8, v27, v20
	s_waitcnt lgkmcnt(3)
	ds_bpermute_b32 v9, v27, v19
	s_waitcnt lgkmcnt(3)
	ds_bpermute_b32 v10, v27, v32
	s_waitcnt lgkmcnt(3)
	ds_bpermute_b32 v11, v27, v33
	s_and_saveexec_b64 s[10:11], s[4:5]
	s_cbranch_execz .LBB55_13
; %bb.12:                               ;   in Loop: Header=BB55_3 Depth=1
	s_waitcnt lgkmcnt(2)
	v_mov_b64_e32 v[4:5], v[8:9]
	s_waitcnt lgkmcnt(0)
	v_mov_b64_e32 v[6:7], v[10:11]
.LBB55_13:                              ;   in Loop: Header=BB55_3 Depth=1
	s_or_b64 exec, exec, s[10:11]
	s_waitcnt lgkmcnt(3)
	ds_bpermute_b32 v8, v27, v18
	s_waitcnt lgkmcnt(3)
	ds_bpermute_b32 v9, v27, v17
	s_waitcnt lgkmcnt(3)
	ds_bpermute_b32 v10, v27, v30
	s_waitcnt lgkmcnt(3)
	ds_bpermute_b32 v11, v27, v31
	;; [unrolled: 17-line block ×3, first 2 shown]
	s_and_saveexec_b64 s[10:11], vcc
	s_or_b64 exec, exec, s[10:11]
	ds_bpermute_b32 v12, v28, v22
	ds_bpermute_b32 v13, v28, v21
	;; [unrolled: 1-line block ×4, first 2 shown]
	s_and_saveexec_b64 s[10:11], s[8:9]
	s_cbranch_execz .LBB55_17
; %bb.16:                               ;   in Loop: Header=BB55_3 Depth=1
	s_waitcnt lgkmcnt(2)
	v_mov_b64_e32 v[8:9], v[12:13]
	s_waitcnt lgkmcnt(0)
	v_mov_b64_e32 v[10:11], v[14:15]
.LBB55_17:                              ;   in Loop: Header=BB55_3 Depth=1
	s_or_b64 exec, exec, s[10:11]
	s_waitcnt lgkmcnt(3)
	ds_bpermute_b32 v12, v28, v20
	s_waitcnt lgkmcnt(3)
	ds_bpermute_b32 v13, v28, v19
	s_waitcnt lgkmcnt(3)
	ds_bpermute_b32 v14, v28, v32
	s_waitcnt lgkmcnt(3)
	ds_bpermute_b32 v15, v28, v33
	s_and_saveexec_b64 s[10:11], s[4:5]
	s_cbranch_execz .LBB55_19
; %bb.18:                               ;   in Loop: Header=BB55_3 Depth=1
	s_waitcnt lgkmcnt(2)
	v_mov_b64_e32 v[8:9], v[12:13]
	s_waitcnt lgkmcnt(0)
	v_mov_b64_e32 v[10:11], v[14:15]
.LBB55_19:                              ;   in Loop: Header=BB55_3 Depth=1
	s_or_b64 exec, exec, s[10:11]
	s_waitcnt lgkmcnt(3)
	ds_bpermute_b32 v12, v28, v18
	s_waitcnt lgkmcnt(3)
	ds_bpermute_b32 v13, v28, v17
	s_waitcnt lgkmcnt(3)
	ds_bpermute_b32 v14, v28, v30
	s_waitcnt lgkmcnt(3)
	ds_bpermute_b32 v15, v28, v31
	;; [unrolled: 17-line block ×3, first 2 shown]
	s_and_saveexec_b64 s[10:11], vcc
	s_or_b64 exec, exec, s[10:11]
	ds_bpermute_b32 v22, v29, v22
	ds_bpermute_b32 v23, v29, v21
	;; [unrolled: 1-line block ×4, first 2 shown]
	s_and_saveexec_b64 s[10:11], s[8:9]
	s_cbranch_execz .LBB55_23
; %bb.22:                               ;   in Loop: Header=BB55_3 Depth=1
	s_waitcnt lgkmcnt(2)
	v_mov_b64_e32 v[12:13], v[22:23]
	s_waitcnt lgkmcnt(0)
	v_mov_b64_e32 v[14:15], v[24:25]
.LBB55_23:                              ;   in Loop: Header=BB55_3 Depth=1
	s_or_b64 exec, exec, s[10:11]
	ds_bpermute_b32 v20, v29, v20
	ds_bpermute_b32 v21, v29, v19
	s_waitcnt lgkmcnt(5)
	ds_bpermute_b32 v22, v29, v32
	s_waitcnt lgkmcnt(5)
	ds_bpermute_b32 v23, v29, v33
	s_and_saveexec_b64 s[10:11], s[4:5]
	s_cbranch_execz .LBB55_25
; %bb.24:                               ;   in Loop: Header=BB55_3 Depth=1
	s_waitcnt lgkmcnt(2)
	v_mov_b64_e32 v[12:13], v[20:21]
	s_waitcnt lgkmcnt(0)
	v_mov_b64_e32 v[14:15], v[22:23]
.LBB55_25:                              ;   in Loop: Header=BB55_3 Depth=1
	s_or_b64 exec, exec, s[10:11]
	ds_bpermute_b32 v18, v29, v18
	ds_bpermute_b32 v19, v29, v17
	s_waitcnt lgkmcnt(5)
	ds_bpermute_b32 v20, v29, v30
	s_waitcnt lgkmcnt(5)
	ds_bpermute_b32 v21, v29, v31
	s_and_saveexec_b64 s[10:11], s[6:7]
	s_cbranch_execz .LBB55_2
; %bb.26:                               ;   in Loop: Header=BB55_3 Depth=1
	s_waitcnt lgkmcnt(2)
	v_mov_b64_e32 v[12:13], v[18:19]
	s_waitcnt lgkmcnt(0)
	v_mov_b64_e32 v[14:15], v[20:21]
	s_branch .LBB55_2
.LBB55_27:
	v_mov_b64_e32 v[2:3], 0
	v_mov_b32_e32 v23, v17
	v_mov_b32_e32 v21, v17
	;; [unrolled: 1-line block ×3, first 2 shown]
	v_mov_b64_e32 v[14:15], 0
	v_mov_b64_e32 v[0:1], v[16:17]
	;; [unrolled: 1-line block ×7, first 2 shown]
.LBB55_28:
	s_load_dwordx2 s[0:1], s[0:1], 0x0
	v_lshl_or_b32 v16, s2, 10, v16
	v_mov_b32_e32 v17, 0
	s_waitcnt lgkmcnt(0)
	v_lshl_add_u64 v[16:17], v[16:17], 4, s[0:1]
	global_store_dwordx4 v[16:17], v[0:3], off
	global_store_dwordx4 v[16:17], v[4:7], off offset:16
	global_store_dwordx4 v[16:17], v[8:11], off offset:32
	;; [unrolled: 1-line block ×3, first 2 shown]
	s_endpgm
	.section	.rodata,"a",@progbits
	.p2align	6, 0x0
	.amdhsa_kernel _Z20warp_exchange_kernelILj256ELj4ELj32EN6common25StripedToBlockedShuffleOpEnEvPT3_j
		.amdhsa_group_segment_fixed_size 0
		.amdhsa_private_segment_fixed_size 0
		.amdhsa_kernarg_size 12
		.amdhsa_user_sgpr_count 2
		.amdhsa_user_sgpr_dispatch_ptr 0
		.amdhsa_user_sgpr_queue_ptr 0
		.amdhsa_user_sgpr_kernarg_segment_ptr 1
		.amdhsa_user_sgpr_dispatch_id 0
		.amdhsa_user_sgpr_kernarg_preload_length 0
		.amdhsa_user_sgpr_kernarg_preload_offset 0
		.amdhsa_user_sgpr_private_segment_size 0
		.amdhsa_uses_dynamic_stack 0
		.amdhsa_enable_private_segment 0
		.amdhsa_system_sgpr_workgroup_id_x 1
		.amdhsa_system_sgpr_workgroup_id_y 0
		.amdhsa_system_sgpr_workgroup_id_z 0
		.amdhsa_system_sgpr_workgroup_info 0
		.amdhsa_system_vgpr_workitem_id 0
		.amdhsa_next_free_vgpr 37
		.amdhsa_next_free_sgpr 12
		.amdhsa_accum_offset 40
		.amdhsa_reserve_vcc 1
		.amdhsa_float_round_mode_32 0
		.amdhsa_float_round_mode_16_64 0
		.amdhsa_float_denorm_mode_32 3
		.amdhsa_float_denorm_mode_16_64 3
		.amdhsa_dx10_clamp 1
		.amdhsa_ieee_mode 1
		.amdhsa_fp16_overflow 0
		.amdhsa_tg_split 0
		.amdhsa_exception_fp_ieee_invalid_op 0
		.amdhsa_exception_fp_denorm_src 0
		.amdhsa_exception_fp_ieee_div_zero 0
		.amdhsa_exception_fp_ieee_overflow 0
		.amdhsa_exception_fp_ieee_underflow 0
		.amdhsa_exception_fp_ieee_inexact 0
		.amdhsa_exception_int_div_zero 0
	.end_amdhsa_kernel
	.section	.text._Z20warp_exchange_kernelILj256ELj4ELj32EN6common25StripedToBlockedShuffleOpEnEvPT3_j,"axG",@progbits,_Z20warp_exchange_kernelILj256ELj4ELj32EN6common25StripedToBlockedShuffleOpEnEvPT3_j,comdat
.Lfunc_end55:
	.size	_Z20warp_exchange_kernelILj256ELj4ELj32EN6common25StripedToBlockedShuffleOpEnEvPT3_j, .Lfunc_end55-_Z20warp_exchange_kernelILj256ELj4ELj32EN6common25StripedToBlockedShuffleOpEnEvPT3_j
                                        ; -- End function
	.section	.AMDGPU.csdata,"",@progbits
; Kernel info:
; codeLenInByte = 1428
; NumSgprs: 18
; NumVgprs: 37
; NumAgprs: 0
; TotalNumVgprs: 37
; ScratchSize: 0
; MemoryBound: 0
; FloatMode: 240
; IeeeMode: 1
; LDSByteSize: 0 bytes/workgroup (compile time only)
; SGPRBlocks: 2
; VGPRBlocks: 4
; NumSGPRsForWavesPerEU: 18
; NumVGPRsForWavesPerEU: 37
; AccumOffset: 40
; Occupancy: 8
; WaveLimiterHint : 0
; COMPUTE_PGM_RSRC2:SCRATCH_EN: 0
; COMPUTE_PGM_RSRC2:USER_SGPR: 2
; COMPUTE_PGM_RSRC2:TRAP_HANDLER: 0
; COMPUTE_PGM_RSRC2:TGID_X_EN: 1
; COMPUTE_PGM_RSRC2:TGID_Y_EN: 0
; COMPUTE_PGM_RSRC2:TGID_Z_EN: 0
; COMPUTE_PGM_RSRC2:TIDIG_COMP_CNT: 0
; COMPUTE_PGM_RSRC3_GFX90A:ACCUM_OFFSET: 9
; COMPUTE_PGM_RSRC3_GFX90A:TG_SPLIT: 0
	.section	.text._Z20warp_exchange_kernelILj256ELj16ELj16EN6common25StripedToBlockedShuffleOpEnEvPT3_j,"axG",@progbits,_Z20warp_exchange_kernelILj256ELj16ELj16EN6common25StripedToBlockedShuffleOpEnEvPT3_j,comdat
	.protected	_Z20warp_exchange_kernelILj256ELj16ELj16EN6common25StripedToBlockedShuffleOpEnEvPT3_j ; -- Begin function _Z20warp_exchange_kernelILj256ELj16ELj16EN6common25StripedToBlockedShuffleOpEnEvPT3_j
	.globl	_Z20warp_exchange_kernelILj256ELj16ELj16EN6common25StripedToBlockedShuffleOpEnEvPT3_j
	.p2align	8
	.type	_Z20warp_exchange_kernelILj256ELj16ELj16EN6common25StripedToBlockedShuffleOpEnEvPT3_j,@function
_Z20warp_exchange_kernelILj256ELj16ELj16EN6common25StripedToBlockedShuffleOpEnEvPT3_j: ; @_Z20warp_exchange_kernelILj256ELj16ELj16EN6common25StripedToBlockedShuffleOpEnEvPT3_j
; %bb.0:
	s_load_dword s3, s[0:1], 0x8
	v_lshlrev_b32_e32 v64, 4, v0
	v_or_b32_e32 v56, 1, v64
	v_or_b32_e32 v52, 2, v64
	v_or_b32_e32 v44, 3, v64
	v_or_b32_e32 v48, 4, v64
	v_or_b32_e32 v40, 5, v64
	v_or_b32_e32 v32, 6, v64
	v_or_b32_e32 v28, 7, v64
	v_or_b32_e32 v36, 8, v64
	v_or_b32_e32 v24, 9, v64
	v_or_b32_e32 v20, 10, v64
	v_or_b32_e32 v12, 11, v64
	v_or_b32_e32 v16, 12, v64
	v_or_b32_e32 v8, 13, v64
	v_or_b32_e32 v4, 14, v64
	s_waitcnt lgkmcnt(0)
	s_cmp_eq_u32 s3, 0
	v_or_b32_e32 v0, 15, v64
	s_cbranch_scc1 .LBB56_3
; %bb.1:
	v_mbcnt_lo_u32_b32 v6, -1, 0
	v_mbcnt_hi_u32_b32 v6, -1, v6
	v_and_b32_e32 v7, 8, v6
	v_lshlrev_b32_e32 v10, 4, v7
	v_xor_b32_e32 v10, 0x80, v10
	v_and_b32_e32 v29, 4, v6
	v_mov_b32_e32 v11, 0
	v_add_u32_e32 v66, 0, v10
	v_mov_b32_e32 v10, 0x90
	v_cmp_eq_u32_e32 vcc, 0, v7
	v_mov_b32_e32 v7, 0xa0
	v_mov_b32_e32 v14, 0xb0
	;; [unrolled: 1-line block ×9, first 2 shown]
	v_lshlrev_b32_e32 v30, 4, v29
	v_mov_b32_e32 v1, 0
	v_cndmask_b32_e32 v67, 16, v10, vcc
	v_cndmask_b32_e32 v68, 32, v7, vcc
	;; [unrolled: 1-line block ×7, first 2 shown]
	v_xad_u32 v74, v30, 64, v11
	v_cmp_eq_u32_e32 vcc, 0, v29
	v_mov_b32_e32 v29, 0x80
	v_and_b32_e32 v30, 2, v6
	v_and_b32_e32 v6, 1, v6
	v_mov_b64_e32 v[2:3], 0
	v_mov_b32_e32 v65, v1
	v_cndmask_b32_e32 v75, 16, v18, vcc
	v_cndmask_b32_e32 v76, 32, v22, vcc
	;; [unrolled: 1-line block ×7, first 2 shown]
	v_lshlrev_b32_e32 v31, 4, v30
	v_cmp_eq_u32_e32 vcc, 0, v30
	v_lshlrev_b32_e32 v30, 4, v6
	v_cmp_eq_u32_e64 s[4:5], 0, v6
	v_mov_b32_e32 v5, v1
	v_mov_b32_e32 v9, v1
	;; [unrolled: 1-line block ×7, first 2 shown]
	v_xad_u32 v82, v31, 32, v11
	v_cndmask_b32_e32 v83, 64, v22, vcc
	v_cndmask_b32_e32 v84, v18, v26, vcc
	v_xad_u32 v85, v30, 16, v11
	v_cndmask_b32_e32 v86, v29, v7, vcc
	v_cndmask_b32_e64 v87, v22, v26, s[4:5]
	v_cndmask_b32_e32 v88, v10, v14, vcc
	v_cndmask_b32_e64 v89, v29, v10, s[4:5]
	;; [unrolled: 2-line block ×4, first 2 shown]
	v_cndmask_b32_e64 v94, v15, v19, s[4:5]
	v_cndmask_b32_e64 v95, v23, v27, s[4:5]
	v_mov_b64_e32 v[6:7], v[2:3]
	v_mov_b64_e32 v[10:11], v[2:3]
	;; [unrolled: 1-line block ×7, first 2 shown]
	v_mov_b32_e32 v29, v1
	v_mov_b64_e32 v[30:31], v[2:3]
	v_mov_b32_e32 v33, v1
	v_mov_b64_e32 v[34:35], v[2:3]
	;; [unrolled: 2-line block ×7, first 2 shown]
	v_mov_b64_e32 v[62:63], 0
	v_mov_b64_e32 v[60:61], v[64:65]
	v_cndmask_b32_e64 v65, 16, 48, vcc
	v_cndmask_b32_e64 v96, 32, 48, s[4:5]
.LBB56_2:                               ; =>This Inner Loop Header: Depth=1
	s_waitcnt vmcnt(13)
	scratch_store_dwordx4 off, v[60:63], off
	s_waitcnt vmcnt(13)
	scratch_store_dwordx4 off, v[56:59], off offset:16
	s_waitcnt vmcnt(13)
	scratch_store_dwordx4 off, v[52:55], off offset:32
	scratch_store_dwordx4 off, v[44:47], off offset:48
	;; [unrolled: 1-line block ×6, first 2 shown]
	s_waitcnt vmcnt(18)
	scratch_store_dwordx4 off, v[36:39], off offset:128
	scratch_load_dwordx4 v[28:31], v66, off
	s_add_i32 s3, s3, -1
	s_waitcnt vmcnt(19)
	scratch_store_dwordx4 off, v[24:27], off offset:144
	s_waitcnt vmcnt(18)
	scratch_store_dwordx4 off, v[20:23], off offset:160
	;; [unrolled: 2-line block ×5, first 2 shown]
	s_cmp_lg_u32 s3, 0
	s_waitcnt vmcnt(5)
	ds_swizzle_b32 v24, v28 offset:swizzle(SWAP,8)
	ds_swizzle_b32 v25, v29 offset:swizzle(SWAP,8)
	ds_swizzle_b32 v26, v30 offset:swizzle(SWAP,8)
	ds_swizzle_b32 v27, v31 offset:swizzle(SWAP,8)
	s_waitcnt lgkmcnt(0)
	scratch_store_dwordx4 v66, v[24:27], off
	scratch_load_dwordx4 v[24:27], v67, off
	s_waitcnt vmcnt(0)
	ds_swizzle_b32 v20, v24 offset:swizzle(SWAP,8)
	ds_swizzle_b32 v21, v25 offset:swizzle(SWAP,8)
	ds_swizzle_b32 v22, v26 offset:swizzle(SWAP,8)
	ds_swizzle_b32 v23, v27 offset:swizzle(SWAP,8)
	s_waitcnt lgkmcnt(0)
	scratch_store_dwordx4 v67, v[20:23], off
	scratch_load_dwordx4 v[20:23], v68, off
	;; [unrolled: 8-line block ×5, first 2 shown]
	s_nop 0
	scratch_load_dwordx4 v[12:15], v74, off
	s_nop 0
	scratch_store_dwordx4 off, v[4:7], off offset:224
	s_waitcnt vmcnt(2)
	ds_swizzle_b32 v4, v8 offset:swizzle(SWAP,8)
	ds_swizzle_b32 v5, v9 offset:swizzle(SWAP,8)
	;; [unrolled: 1-line block ×4, first 2 shown]
	s_waitcnt vmcnt(1)
	ds_swizzle_b32 v8, v12 offset:swizzle(SWAP,4)
	ds_swizzle_b32 v9, v13 offset:swizzle(SWAP,4)
	;; [unrolled: 1-line block ×4, first 2 shown]
	s_waitcnt lgkmcnt(4)
	scratch_store_dwordx4 v71, v[4:7], off
	s_waitcnt lgkmcnt(0)
	scratch_store_dwordx4 v74, v[8:11], off
	scratch_load_dwordx4 v[4:7], v72, off
	s_nop 0
	scratch_load_dwordx4 v[8:11], v75, off
	s_nop 0
	scratch_store_dwordx4 off, v[0:3], off offset:240
	s_waitcnt vmcnt(2)
	ds_swizzle_b32 v0, v4 offset:swizzle(SWAP,8)
	ds_swizzle_b32 v1, v5 offset:swizzle(SWAP,8)
	;; [unrolled: 1-line block ×4, first 2 shown]
	s_waitcnt vmcnt(1)
	ds_swizzle_b32 v4, v8 offset:swizzle(SWAP,4)
	ds_swizzle_b32 v5, v9 offset:swizzle(SWAP,4)
	;; [unrolled: 1-line block ×4, first 2 shown]
	s_waitcnt lgkmcnt(4)
	scratch_store_dwordx4 v72, v[0:3], off
	s_waitcnt lgkmcnt(0)
	scratch_store_dwordx4 v75, v[4:7], off
	scratch_load_dwordx4 v[0:3], v73, off
	s_nop 0
	scratch_load_dwordx4 v[4:7], v76, off
	s_waitcnt vmcnt(1)
	ds_swizzle_b32 v0, v0 offset:swizzle(SWAP,8)
	ds_swizzle_b32 v1, v1 offset:swizzle(SWAP,8)
	ds_swizzle_b32 v2, v2 offset:swizzle(SWAP,8)
	ds_swizzle_b32 v3, v3 offset:swizzle(SWAP,8)
	s_waitcnt vmcnt(0)
	ds_swizzle_b32 v4, v4 offset:swizzle(SWAP,4)
	ds_swizzle_b32 v5, v5 offset:swizzle(SWAP,4)
	;; [unrolled: 1-line block ×4, first 2 shown]
	s_waitcnt lgkmcnt(4)
	scratch_store_dwordx4 v73, v[0:3], off
	s_waitcnt lgkmcnt(0)
	scratch_store_dwordx4 v76, v[4:7], off
	scratch_load_dwordx4 v[0:3], v78, off
	s_nop 0
	scratch_load_dwordx4 v[4:7], v77, off
	s_waitcnt vmcnt(1)
	ds_swizzle_b32 v0, v0 offset:swizzle(SWAP,4)
	ds_swizzle_b32 v1, v1 offset:swizzle(SWAP,4)
	;; [unrolled: 1-line block ×4, first 2 shown]
	s_waitcnt vmcnt(0)
	ds_swizzle_b32 v4, v4 offset:swizzle(SWAP,4)
	ds_swizzle_b32 v5, v5 offset:swizzle(SWAP,4)
	;; [unrolled: 1-line block ×4, first 2 shown]
	s_waitcnt lgkmcnt(4)
	scratch_store_dwordx4 v78, v[0:3], off
	scratch_load_dwordx4 v[0:3], v79, off
	s_nop 0
	scratch_load_dwordx4 v[8:11], v82, off
	s_waitcnt vmcnt(1)
	ds_swizzle_b32 v0, v0 offset:swizzle(SWAP,4)
	ds_swizzle_b32 v1, v1 offset:swizzle(SWAP,4)
	;; [unrolled: 1-line block ×4, first 2 shown]
	s_waitcnt lgkmcnt(4)
	scratch_store_dwordx4 v77, v[4:7], off
	s_waitcnt vmcnt(1)
	ds_swizzle_b32 v4, v8 offset:swizzle(SWAP,2)
	ds_swizzle_b32 v5, v9 offset:swizzle(SWAP,2)
	;; [unrolled: 1-line block ×3, first 2 shown]
	s_waitcnt lgkmcnt(3)
	scratch_store_dwordx4 v79, v[0:3], off
	scratch_load_dwordx4 v[0:3], v80, off
	ds_swizzle_b32 v7, v11 offset:swizzle(SWAP,2)
	s_waitcnt lgkmcnt(0)
	scratch_store_dwordx4 v82, v[4:7], off
	scratch_load_dwordx4 v[4:7], v65, off
	s_waitcnt vmcnt(2)
	ds_swizzle_b32 v0, v0 offset:swizzle(SWAP,4)
	ds_swizzle_b32 v1, v1 offset:swizzle(SWAP,4)
	;; [unrolled: 1-line block ×4, first 2 shown]
	s_waitcnt vmcnt(0)
	ds_swizzle_b32 v4, v4 offset:swizzle(SWAP,2)
	s_waitcnt lgkmcnt(1)
	scratch_store_dwordx4 v80, v[0:3], off
	scratch_load_dwordx4 v[0:3], v83, off
	s_nop 0
	scratch_load_dwordx4 v[8:11], v81, off
	ds_swizzle_b32 v5, v5 offset:swizzle(SWAP,2)
	ds_swizzle_b32 v6, v6 offset:swizzle(SWAP,2)
	;; [unrolled: 1-line block ×3, first 2 shown]
	s_waitcnt vmcnt(1)
	ds_swizzle_b32 v0, v0 offset:swizzle(SWAP,2)
	ds_swizzle_b32 v1, v1 offset:swizzle(SWAP,2)
	;; [unrolled: 1-line block ×4, first 2 shown]
	s_waitcnt vmcnt(0)
	ds_swizzle_b32 v8, v8 offset:swizzle(SWAP,4)
	ds_swizzle_b32 v9, v9 offset:swizzle(SWAP,4)
	;; [unrolled: 1-line block ×4, first 2 shown]
	s_waitcnt lgkmcnt(4)
	scratch_store_dwordx4 v83, v[0:3], off
	scratch_load_dwordx4 v[0:3], v86, off
	s_nop 0
	scratch_load_dwordx4 v[12:15], v84, off
	s_waitcnt vmcnt(1)
	ds_swizzle_b32 v0, v0 offset:swizzle(SWAP,2)
	ds_swizzle_b32 v1, v1 offset:swizzle(SWAP,2)
	;; [unrolled: 1-line block ×4, first 2 shown]
	s_waitcnt lgkmcnt(4)
	scratch_store_dwordx4 v81, v[8:11], off
	s_waitcnt vmcnt(1)
	ds_swizzle_b32 v12, v12 offset:swizzle(SWAP,2)
	ds_swizzle_b32 v13, v13 offset:swizzle(SWAP,2)
	;; [unrolled: 1-line block ×3, first 2 shown]
	s_waitcnt lgkmcnt(3)
	scratch_store_dwordx4 v86, v[0:3], off
	scratch_load_dwordx4 v[0:3], v90, off
	s_nop 0
	scratch_load_dwordx4 v[8:11], v88, off
	ds_swizzle_b32 v15, v15 offset:swizzle(SWAP,2)
	scratch_store_dwordx4 v65, v[4:7], off
	scratch_load_dwordx4 v[4:7], v96, off
	s_waitcnt vmcnt(3)
	ds_swizzle_b32 v0, v0 offset:swizzle(SWAP,2)
	ds_swizzle_b32 v1, v1 offset:swizzle(SWAP,2)
	;; [unrolled: 1-line block ×4, first 2 shown]
	s_waitcnt lgkmcnt(4)
	scratch_store_dwordx4 v84, v[12:15], off
	s_waitcnt vmcnt(3)
	ds_swizzle_b32 v8, v8 offset:swizzle(SWAP,2)
	ds_swizzle_b32 v9, v9 offset:swizzle(SWAP,2)
	;; [unrolled: 1-line block ×3, first 2 shown]
	s_waitcnt lgkmcnt(3)
	scratch_store_dwordx4 v90, v[0:3], off
	scratch_load_dwordx4 v[0:3], v92, off
	s_nop 0
	scratch_load_dwordx4 v[12:15], v93, off
	scratch_load_dwordx4 v[16:19], v87, off
	ds_swizzle_b32 v11, v11 offset:swizzle(SWAP,2)
	s_waitcnt vmcnt(5)
	ds_swizzle_b32 v4, v4 offset:swizzle(SWAP,1)
	ds_swizzle_b32 v5, v5 offset:swizzle(SWAP,1)
	;; [unrolled: 1-line block ×4, first 2 shown]
	s_waitcnt lgkmcnt(4)
	scratch_store_dwordx4 v88, v[8:11], off
	scratch_load_dwordx4 v[8:11], v85, off
	s_nop 0
	scratch_load_dwordx4 v[20:23], v89, off
	scratch_load_dwordx4 v[24:27], v91, off
	s_waitcnt vmcnt(6)
	ds_swizzle_b32 v0, v0 offset:swizzle(SWAP,2)
	ds_swizzle_b32 v1, v1 offset:swizzle(SWAP,2)
	;; [unrolled: 1-line block ×4, first 2 shown]
	s_waitcnt lgkmcnt(0)
	scratch_store_dwordx4 v92, v[0:3], off
	scratch_load_dwordx4 v[0:3], v94, off
	s_nop 0
	scratch_load_dwordx4 v[98:101], v95, off
	s_waitcnt vmcnt(1)
	ds_swizzle_b32 v0, v0 offset:swizzle(SWAP,1)
	scratch_store_dwordx4 v96, v[4:7], off
	ds_swizzle_b32 v4, v12 offset:swizzle(SWAP,1)
	ds_swizzle_b32 v5, v13 offset:swizzle(SWAP,1)
	;; [unrolled: 1-line block ×4, first 2 shown]
	scratch_load_dwordx4 v[44:47], off, off offset:48
	ds_swizzle_b32 v1, v1 offset:swizzle(SWAP,1)
	ds_swizzle_b32 v2, v2 offset:swizzle(SWAP,1)
	;; [unrolled: 1-line block ×3, first 2 shown]
	s_waitcnt lgkmcnt(3)
	scratch_store_dwordx4 v93, v[4:7], off
	ds_swizzle_b32 v4, v16 offset:swizzle(SWAP,1)
	ds_swizzle_b32 v5, v17 offset:swizzle(SWAP,1)
	;; [unrolled: 1-line block ×4, first 2 shown]
	scratch_load_dwordx4 v[48:51], off, off offset:64
	scratch_load_dwordx4 v[40:43], off, off offset:80
	s_waitcnt lgkmcnt(0)
	scratch_store_dwordx4 v87, v[4:7], off
	ds_swizzle_b32 v4, v8 offset:swizzle(SWAP,1)
	ds_swizzle_b32 v5, v9 offset:swizzle(SWAP,1)
	;; [unrolled: 1-line block ×8, first 2 shown]
	scratch_load_dwordx4 v[32:35], off, off offset:96
	scratch_load_dwordx4 v[28:31], off, off offset:112
	s_waitcnt lgkmcnt(4)
	scratch_store_dwordx4 v85, v[4:7], off
	s_waitcnt lgkmcnt(0)
	scratch_store_dwordx4 v89, v[8:11], off
	ds_swizzle_b32 v4, v24 offset:swizzle(SWAP,1)
	ds_swizzle_b32 v5, v25 offset:swizzle(SWAP,1)
	;; [unrolled: 1-line block ×4, first 2 shown]
	scratch_load_dwordx4 v[60:63], off, off
	scratch_load_dwordx4 v[56:59], off, off offset:16
	scratch_load_dwordx4 v[52:55], off, off offset:32
	;; [unrolled: 1-line block ×4, first 2 shown]
	s_waitcnt lgkmcnt(0)
	scratch_store_dwordx4 v91, v[4:7], off
	s_waitcnt vmcnt(16)
	ds_swizzle_b32 v4, v98 offset:swizzle(SWAP,1)
	ds_swizzle_b32 v5, v99 offset:swizzle(SWAP,1)
	ds_swizzle_b32 v6, v100 offset:swizzle(SWAP,1)
	ds_swizzle_b32 v7, v101 offset:swizzle(SWAP,1)
	scratch_load_dwordx4 v[20:23], off, off offset:160
	scratch_load_dwordx4 v[12:15], off, off offset:176
	s_nop 0
	scratch_store_dwordx4 v94, v[0:3], off
	s_waitcnt lgkmcnt(0)
	scratch_store_dwordx4 v95, v[4:7], off
	scratch_load_dwordx4 v[16:19], off, off offset:192
	scratch_load_dwordx4 v[8:11], off, off offset:208
	s_nop 0
	scratch_load_dwordx4 v[4:7], off, off offset:224
	scratch_load_dwordx4 v[0:3], off, off offset:240
	; wave barrier
	s_cbranch_scc1 .LBB56_2
	s_branch .LBB56_4
.LBB56_3:
	v_mov_b32_e32 v65, 0
	v_mov_b64_e32 v[62:63], 0
	v_mov_b64_e32 v[2:3], 0
	v_mov_b32_e32 v57, v65
	v_mov_b32_e32 v53, v65
	;; [unrolled: 1-line block ×13, first 2 shown]
	v_mov_b64_e32 v[60:61], v[64:65]
	v_mov_b64_e32 v[58:59], v[62:63]
	;; [unrolled: 1-line block ×13, first 2 shown]
	v_mov_b32_e32 v9, v65
	v_mov_b64_e32 v[10:11], v[62:63]
	v_mov_b32_e32 v5, v65
	v_mov_b64_e32 v[6:7], v[62:63]
.LBB56_4:
	s_load_dwordx2 s[0:1], s[0:1], 0x0
	v_lshl_or_b32 v64, s2, 12, v64
	v_mov_b32_e32 v65, 0
	s_waitcnt lgkmcnt(0)
	v_lshl_add_u64 v[64:65], v[64:65], 4, s[0:1]
	s_waitcnt vmcnt(13)
	global_store_dwordx4 v[64:65], v[60:63], off
	s_waitcnt vmcnt(13)
	global_store_dwordx4 v[64:65], v[56:59], off offset:16
	s_waitcnt vmcnt(13)
	global_store_dwordx4 v[64:65], v[52:55], off offset:32
	global_store_dwordx4 v[64:65], v[44:47], off offset:48
	;; [unrolled: 1-line block ×6, first 2 shown]
	s_waitcnt vmcnt(18)
	global_store_dwordx4 v[64:65], v[36:39], off offset:128
	s_waitcnt vmcnt(18)
	global_store_dwordx4 v[64:65], v[24:27], off offset:144
	;; [unrolled: 2-line block ×8, first 2 shown]
	s_endpgm
	.section	.rodata,"a",@progbits
	.p2align	6, 0x0
	.amdhsa_kernel _Z20warp_exchange_kernelILj256ELj16ELj16EN6common25StripedToBlockedShuffleOpEnEvPT3_j
		.amdhsa_group_segment_fixed_size 0
		.amdhsa_private_segment_fixed_size 272
		.amdhsa_kernarg_size 12
		.amdhsa_user_sgpr_count 2
		.amdhsa_user_sgpr_dispatch_ptr 0
		.amdhsa_user_sgpr_queue_ptr 0
		.amdhsa_user_sgpr_kernarg_segment_ptr 1
		.amdhsa_user_sgpr_dispatch_id 0
		.amdhsa_user_sgpr_kernarg_preload_length 0
		.amdhsa_user_sgpr_kernarg_preload_offset 0
		.amdhsa_user_sgpr_private_segment_size 0
		.amdhsa_uses_dynamic_stack 0
		.amdhsa_enable_private_segment 1
		.amdhsa_system_sgpr_workgroup_id_x 1
		.amdhsa_system_sgpr_workgroup_id_y 0
		.amdhsa_system_sgpr_workgroup_id_z 0
		.amdhsa_system_sgpr_workgroup_info 0
		.amdhsa_system_vgpr_workitem_id 0
		.amdhsa_next_free_vgpr 102
		.amdhsa_next_free_sgpr 6
		.amdhsa_accum_offset 104
		.amdhsa_reserve_vcc 1
		.amdhsa_float_round_mode_32 0
		.amdhsa_float_round_mode_16_64 0
		.amdhsa_float_denorm_mode_32 3
		.amdhsa_float_denorm_mode_16_64 3
		.amdhsa_dx10_clamp 1
		.amdhsa_ieee_mode 1
		.amdhsa_fp16_overflow 0
		.amdhsa_tg_split 0
		.amdhsa_exception_fp_ieee_invalid_op 0
		.amdhsa_exception_fp_denorm_src 0
		.amdhsa_exception_fp_ieee_div_zero 0
		.amdhsa_exception_fp_ieee_overflow 0
		.amdhsa_exception_fp_ieee_underflow 0
		.amdhsa_exception_fp_ieee_inexact 0
		.amdhsa_exception_int_div_zero 0
	.end_amdhsa_kernel
	.section	.text._Z20warp_exchange_kernelILj256ELj16ELj16EN6common25StripedToBlockedShuffleOpEnEvPT3_j,"axG",@progbits,_Z20warp_exchange_kernelILj256ELj16ELj16EN6common25StripedToBlockedShuffleOpEnEvPT3_j,comdat
.Lfunc_end56:
	.size	_Z20warp_exchange_kernelILj256ELj16ELj16EN6common25StripedToBlockedShuffleOpEnEvPT3_j, .Lfunc_end56-_Z20warp_exchange_kernelILj256ELj16ELj16EN6common25StripedToBlockedShuffleOpEnEvPT3_j
                                        ; -- End function
	.section	.AMDGPU.csdata,"",@progbits
; Kernel info:
; codeLenInByte = 3024
; NumSgprs: 12
; NumVgprs: 102
; NumAgprs: 0
; TotalNumVgprs: 102
; ScratchSize: 272
; MemoryBound: 0
; FloatMode: 240
; IeeeMode: 1
; LDSByteSize: 0 bytes/workgroup (compile time only)
; SGPRBlocks: 1
; VGPRBlocks: 12
; NumSGPRsForWavesPerEU: 12
; NumVGPRsForWavesPerEU: 102
; AccumOffset: 104
; Occupancy: 4
; WaveLimiterHint : 0
; COMPUTE_PGM_RSRC2:SCRATCH_EN: 1
; COMPUTE_PGM_RSRC2:USER_SGPR: 2
; COMPUTE_PGM_RSRC2:TRAP_HANDLER: 0
; COMPUTE_PGM_RSRC2:TGID_X_EN: 1
; COMPUTE_PGM_RSRC2:TGID_Y_EN: 0
; COMPUTE_PGM_RSRC2:TGID_Z_EN: 0
; COMPUTE_PGM_RSRC2:TIDIG_COMP_CNT: 0
; COMPUTE_PGM_RSRC3_GFX90A:ACCUM_OFFSET: 25
; COMPUTE_PGM_RSRC3_GFX90A:TG_SPLIT: 0
	.section	.text._Z20warp_exchange_kernelILj256ELj16ELj32EN6common25StripedToBlockedShuffleOpEnEvPT3_j,"axG",@progbits,_Z20warp_exchange_kernelILj256ELj16ELj32EN6common25StripedToBlockedShuffleOpEnEvPT3_j,comdat
	.protected	_Z20warp_exchange_kernelILj256ELj16ELj32EN6common25StripedToBlockedShuffleOpEnEvPT3_j ; -- Begin function _Z20warp_exchange_kernelILj256ELj16ELj32EN6common25StripedToBlockedShuffleOpEnEvPT3_j
	.globl	_Z20warp_exchange_kernelILj256ELj16ELj32EN6common25StripedToBlockedShuffleOpEnEvPT3_j
	.p2align	8
	.type	_Z20warp_exchange_kernelILj256ELj16ELj32EN6common25StripedToBlockedShuffleOpEnEvPT3_j,@function
_Z20warp_exchange_kernelILj256ELj16ELj32EN6common25StripedToBlockedShuffleOpEnEvPT3_j: ; @_Z20warp_exchange_kernelILj256ELj16ELj32EN6common25StripedToBlockedShuffleOpEnEvPT3_j
; %bb.0:
	s_load_dword s3, s[0:1], 0x8
	v_lshlrev_b32_e32 v64, 4, v0
	v_or_b32_e32 v12, 1, v64
	v_or_b32_e32 v56, 2, v64
	;; [unrolled: 1-line block ×14, first 2 shown]
	s_waitcnt lgkmcnt(0)
	s_cmp_eq_u32 s3, 0
	v_or_b32_e32 v0, 15, v64
	s_cbranch_scc1 .LBB57_3
; %bb.1:
	v_mbcnt_lo_u32_b32 v6, -1, 0
	v_mbcnt_hi_u32_b32 v6, -1, v6
	v_and_b32_e32 v7, 0x60, v6
	v_add_u32_e32 v10, 28, v6
	v_and_or_b32 v10, v10, 31, v7
	v_lshlrev_b32_e32 v66, 2, v10
	v_add_u32_e32 v10, 24, v6
	v_and_or_b32 v10, v10, 31, v7
	v_lshlrev_b32_e32 v67, 2, v10
	;; [unrolled: 3-line block ×3, first 2 shown]
	v_lshlrev_b32_e32 v10, 2, v6
	v_xor_b32_e32 v69, 64, v10
	v_add_u32_e32 v10, 12, v6
	v_and_or_b32 v10, v10, 31, v7
	v_lshlrev_b32_e32 v70, 2, v10
	v_add_u32_e32 v10, 8, v6
	v_and_or_b32 v10, v10, 31, v7
	v_lshlrev_b32_e32 v71, 2, v10
	;; [unrolled: 3-line block ×3, first 2 shown]
	v_bfe_u32 v7, v6, 2, 3
	v_add_u32_e32 v11, 7, v7
	v_mov_b32_e32 v10, 0
	v_and_b32_e32 v13, 7, v11
	v_lshl_add_u32 v74, v13, 4, v10
	v_mov_b32_e32 v13, 0x80
	v_lshl_or_b32 v11, v11, 4, v13
	v_add_u32_e32 v75, 0, v11
	v_add_u32_e32 v11, 6, v7
	v_and_b32_e32 v14, 7, v11
	v_lshl_or_b32 v11, v11, 4, v13
	v_add_u32_e32 v77, 0, v11
	v_add_u32_e32 v11, 5, v7
	v_lshl_add_u32 v73, v7, 4, v10
	v_lshl_add_u32 v76, v14, 4, v10
	v_and_b32_e32 v14, 7, v11
	v_lshl_or_b32 v11, v11, 4, v13
	v_xor_b32_e32 v7, 4, v7
	v_add_u32_e32 v79, 0, v11
	v_add_u32_e32 v11, 7, v7
	v_lshl_add_u32 v78, v14, 4, v10
	v_and_b32_e32 v14, 7, v11
	v_lshl_or_b32 v11, v11, 4, v13
	v_add_u32_e32 v82, 0, v11
	v_add_u32_e32 v11, 6, v7
	v_lshl_add_u32 v80, v7, 4, v10
	v_lshl_add_u32 v81, v14, 4, v10
	v_and_b32_e32 v14, 7, v11
	v_lshl_or_b32 v11, v11, 4, v13
	v_add_u32_e32 v7, 5, v7
	v_add_u32_e32 v84, 0, v11
	v_and_b32_e32 v11, 7, v7
	v_lshl_or_b32 v7, v7, 4, v13
	v_add_u32_e32 v86, 0, v7
	v_and_b32_e32 v7, 3, v6
	v_add_u32_e32 v6, -1, v6
	v_lshl_add_u32 v83, v14, 4, v10
	v_lshl_add_u32 v85, v11, 4, v10
	v_mov_b32_e32 v10, 0x100
	v_and_b32_e32 v6, 3, v6
	v_lshl_add_u32 v88, v6, 4, v10
	v_xor_b32_e32 v6, 2, v7
	v_lshl_add_u32 v89, v6, 4, v10
	v_add_u32_e32 v6, 3, v6
	v_mov_b32_e32 v1, 0
	v_lshl_add_u32 v87, v7, 4, v10
	v_and_b32_e32 v7, 3, v6
	v_lshlrev_b32_e32 v6, 4, v6
	v_mov_b64_e32 v[2:3], 0
	v_mov_b32_e32 v65, v1
	v_lshl_add_u32 v90, v7, 4, v10
	v_or_b32_e32 v7, 64, v6
	v_or_b32_e32 v6, 0xc0, v6
	v_mov_b32_e32 v21, v1
	v_mov_b32_e32 v5, v1
	;; [unrolled: 1-line block ×8, first 2 shown]
	v_add_u32_e32 v91, 0x100, v7
	v_add_u32_e32 v92, 0x100, v6
	v_mov_b64_e32 v[22:23], v[2:3]
	v_mov_b64_e32 v[6:7], v[2:3]
	;; [unrolled: 1-line block ×8, first 2 shown]
	v_mov_b32_e32 v41, v1
	v_mov_b64_e32 v[42:43], v[2:3]
	v_mov_b32_e32 v45, v1
	v_mov_b64_e32 v[46:47], v[2:3]
	;; [unrolled: 2-line block ×6, first 2 shown]
	v_mov_b64_e32 v[62:63], 0
	v_mov_b64_e32 v[60:61], v[64:65]
.LBB57_2:                               ; =>This Inner Loop Header: Depth=1
	scratch_store_dwordx4 off, v[56:59], off offset:32
	ds_bpermute_b32 v56, v66, v56
	ds_bpermute_b32 v57, v66, v57
	;; [unrolled: 1-line block ×4, first 2 shown]
	scratch_store_dwordx4 off, v[48:51], off offset:48
	s_waitcnt vmcnt(4)
	scratch_store_dwordx4 off, v[52:55], off offset:64
	ds_bpermute_b32 v52, v67, v52
	ds_bpermute_b32 v53, v67, v53
	;; [unrolled: 1-line block ×4, first 2 shown]
	scratch_store_dwordx4 off, v[44:47], off offset:80
	scratch_store_dwordx4 off, v[40:43], off offset:96
	ds_bpermute_b32 v40, v68, v40
	ds_bpermute_b32 v41, v68, v41
	ds_bpermute_b32 v42, v68, v42
	ds_bpermute_b32 v43, v68, v43
	scratch_store_dwordx4 off, v[32:35], off offset:112
	s_waitcnt vmcnt(7)
	scratch_store_dwordx4 off, v[36:39], off offset:128
	ds_bpermute_b32 v36, v69, v36
	ds_bpermute_b32 v37, v69, v37
	;; [unrolled: 1-line block ×4, first 2 shown]
	scratch_store_dwordx4 off, v[28:31], off offset:160
	ds_bpermute_b32 v28, v70, v28
	ds_bpermute_b32 v29, v70, v29
	ds_bpermute_b32 v30, v70, v30
	ds_bpermute_b32 v31, v70, v31
	s_waitcnt vmcnt(8)
	scratch_store_dwordx4 off, v[24:27], off offset:192
	ds_bpermute_b32 v24, v71, v24
	ds_bpermute_b32 v25, v71, v25
	;; [unrolled: 1-line block ×4, first 2 shown]
	scratch_store_dwordx4 off, v[20:23], off offset:224
	ds_bpermute_b32 v20, v72, v20
	ds_bpermute_b32 v21, v72, v21
	;; [unrolled: 1-line block ×4, first 2 shown]
	scratch_store_dwordx4 off, v[60:63], off
	scratch_store_dwordx4 off, v[12:15], off offset:16
	scratch_store_dwordx4 off, v[16:19], off offset:144
	;; [unrolled: 1-line block ×5, first 2 shown]
	scratch_store_dwordx4 v73, v[60:63], off
	s_waitcnt lgkmcnt(14)
	scratch_store_dwordx4 v74, v[56:59], off
	scratch_store_dwordx4 v76, v[52:55], off
	;; [unrolled: 1-line block ×3, first 2 shown]
	s_waitcnt lgkmcnt(12)
	scratch_store_dwordx4 v80, v[36:39], off
	s_waitcnt lgkmcnt(8)
	scratch_store_dwordx4 v81, v[28:31], off
	;; [unrolled: 2-line block ×4, first 2 shown]
	ds_bpermute_b32 v48, v66, v48
	ds_bpermute_b32 v49, v66, v49
	;; [unrolled: 1-line block ×4, first 2 shown]
	scratch_load_dwordx4 v[28:31], off, off offset:64
	scratch_load_dwordx4 v[40:43], off, off offset:48
	ds_bpermute_b32 v44, v67, v44
	ds_bpermute_b32 v45, v67, v45
	;; [unrolled: 1-line block ×4, first 2 shown]
	scratch_load_dwordx4 v[36:39], off, off offset:80
	ds_bpermute_b32 v32, v68, v32
	ds_bpermute_b32 v33, v68, v33
	;; [unrolled: 1-line block ×16, first 2 shown]
	scratch_load_dwordx4 v[20:23], off, off offset:16
	scratch_load_dwordx4 v[24:27], off, off offset:32
	ds_bpermute_b32 v0, v72, v0
	ds_bpermute_b32 v1, v72, v1
	;; [unrolled: 1-line block ×4, first 2 shown]
	scratch_store_dwordx4 v73, v[12:15], off offset:128
	scratch_load_dwordx4 v[12:15], off, off offset:96
	s_waitcnt lgkmcnt(14)
	scratch_store_dwordx4 v75, v[48:51], off
	scratch_store_dwordx4 v77, v[44:47], off
	;; [unrolled: 1-line block ×3, first 2 shown]
	scratch_load_dwordx4 v[32:35], off, off offset:112
	s_waitcnt lgkmcnt(12)
	scratch_store_dwordx4 v80, v[16:19], off offset:128
	s_waitcnt lgkmcnt(8)
	scratch_store_dwordx4 v82, v[8:11], off
	s_waitcnt lgkmcnt(4)
	scratch_store_dwordx4 v84, v[4:7], off
	;; [unrolled: 2-line block ×3, first 2 shown]
	scratch_load_dwordx4 v[0:3], off, off offset:144
	s_nop 0
	scratch_load_dwordx4 v[4:7], off, off offset:160
	scratch_load_dwordx4 v[8:11], off, off offset:176
	;; [unrolled: 1-line block ×6, first 2 shown]
	scratch_load_dwordx4 v[56:59], off, off
	s_add_i32 s3, s3, -1
	s_cmp_lg_u32 s3, 0
	s_waitcnt vmcnt(22)
	ds_bpermute_b32 v28, v69, v28
	ds_bpermute_b32 v29, v69, v29
	;; [unrolled: 1-line block ×4, first 2 shown]
	s_waitcnt vmcnt(21)
	ds_bpermute_b32 v40, v70, v40
	ds_bpermute_b32 v41, v70, v41
	s_waitcnt vmcnt(20)
	ds_bpermute_b32 v36, v68, v36
	ds_bpermute_b32 v37, v68, v37
	;; [unrolled: 1-line block ×4, first 2 shown]
	s_waitcnt lgkmcnt(6)
	scratch_store_dwordx4 off, v[28:31], off offset:64
	s_waitcnt lgkmcnt(0)
	scratch_store_dwordx4 off, v[36:39], off offset:80
	scratch_load_dwordx4 v[60:63], off, off offset:64
	ds_bpermute_b32 v42, v70, v42
	ds_bpermute_b32 v43, v70, v43
	s_waitcnt vmcnt(22)
	ds_bpermute_b32 v20, v72, v20
	ds_bpermute_b32 v21, v72, v21
	ds_bpermute_b32 v22, v72, v22
	ds_bpermute_b32 v23, v72, v23
	s_waitcnt vmcnt(10)
	ds_bpermute_b32 v36, v72, v0
	ds_bpermute_b32 v37, v72, v1
	;; [unrolled: 5-line block ×3, first 2 shown]
	ds_bpermute_b32 v29, v66, v33
	ds_bpermute_b32 v30, v66, v34
	;; [unrolled: 1-line block ×3, first 2 shown]
	scratch_load_dwordx4 v[32:35], off, off offset:128
	ds_bpermute_b32 v1, v71, v5
	ds_bpermute_b32 v2, v71, v6
	ds_bpermute_b32 v3, v71, v7
	s_waitcnt vmcnt(9)
	ds_bpermute_b32 v4, v70, v8
	ds_bpermute_b32 v5, v70, v9
	ds_bpermute_b32 v6, v70, v10
	ds_bpermute_b32 v7, v70, v11
	s_waitcnt vmcnt(8)
	ds_bpermute_b32 v8, v69, v16
	;; [unrolled: 5-line block ×5, first 2 shown]
	ds_bpermute_b32 v49, v66, v53
	ds_bpermute_b32 v50, v66, v54
	;; [unrolled: 1-line block ×3, first 2 shown]
	scratch_load_dwordx4 v[52:55], off, off offset:80
	ds_bpermute_b32 v12, v67, v12
	ds_bpermute_b32 v13, v67, v13
	;; [unrolled: 1-line block ×8, first 2 shown]
	s_waitcnt lgkmcnt(4)
	scratch_store_dwordx4 off, v[12:15], off offset:96
	scratch_store_dwordx4 off, v[28:31], off offset:112
	;; [unrolled: 1-line block ×4, first 2 shown]
	s_waitcnt lgkmcnt(0)
	scratch_store_dwordx4 off, v[24:27], off offset:32
	scratch_store_dwordx4 off, v[40:43], off offset:48
	s_waitcnt vmcnt(11)
	scratch_store_dwordx4 v87, v[56:59], off
	v_mov_b32_dpp v36, v36 quad_perm:[2,3,0,1] row_mask:0xf bank_mask:0xf
	v_mov_b32_dpp v37, v37 quad_perm:[2,3,0,1] row_mask:0xf bank_mask:0xf
	v_mov_b32_dpp v38, v38 quad_perm:[2,3,0,1] row_mask:0xf bank_mask:0xf
	v_mov_b32_dpp v39, v39 quad_perm:[2,3,0,1] row_mask:0xf bank_mask:0xf
	v_mov_b32_dpp v58, v8 quad_perm:[1,2,3,0] row_mask:0xf bank_mask:0xf
	v_mov_b32_dpp v59, v9 quad_perm:[1,2,3,0] row_mask:0xf bank_mask:0xf
	v_mov_b32_dpp v12, v12 quad_perm:[3,0,1,2] row_mask:0xf bank_mask:0xf
	v_mov_b32_dpp v13, v13 quad_perm:[3,0,1,2] row_mask:0xf bank_mask:0xf
	v_mov_b32_dpp v14, v14 quad_perm:[3,0,1,2] row_mask:0xf bank_mask:0xf
	v_mov_b32_dpp v15, v15 quad_perm:[3,0,1,2] row_mask:0xf bank_mask:0xf
	v_mov_b32_dpp v56, v0 quad_perm:[2,3,0,1] row_mask:0xf bank_mask:0xf
	v_mov_b32_dpp v57, v1 quad_perm:[2,3,0,1] row_mask:0xf bank_mask:0xf
	v_mov_b32_dpp v28, v28 quad_perm:[3,0,1,2] row_mask:0xf bank_mask:0xf
	v_mov_b32_dpp v29, v29 quad_perm:[3,0,1,2] row_mask:0xf bank_mask:0xf
	v_mov_b32_dpp v30, v30 quad_perm:[3,0,1,2] row_mask:0xf bank_mask:0xf
	v_mov_b32_dpp v31, v31 quad_perm:[3,0,1,2] row_mask:0xf bank_mask:0xf
	s_waitcnt vmcnt(9)
	v_mov_b32_dpp v60, v60 quad_perm:[3,0,1,2] row_mask:0xf bank_mask:0xf
	v_mov_b32_dpp v61, v61 quad_perm:[3,0,1,2] row_mask:0xf bank_mask:0xf
	v_mov_b32_dpp v62, v62 quad_perm:[3,0,1,2] row_mask:0xf bank_mask:0xf
	v_mov_b32_dpp v63, v63 quad_perm:[3,0,1,2] row_mask:0xf bank_mask:0xf
	scratch_store_dwordx4 v88, v[60:63], off
	s_waitcnt vmcnt(9)
	v_mov_b32_dpp v32, v32 quad_perm:[2,3,0,1] row_mask:0xf bank_mask:0xf
	v_mov_b32_dpp v33, v33 quad_perm:[2,3,0,1] row_mask:0xf bank_mask:0xf
	;; [unrolled: 1-line block ×6, first 2 shown]
	scratch_store_dwordx4 v89, v[32:35], off
	scratch_store_dwordx4 v90, v[58:61], off
	scratch_load_dwordx4 v[32:35], off, off offset:272
	v_mov_b32_dpp v62, v18 quad_perm:[1,2,3,0] row_mask:0xf bank_mask:0xf
	scratch_store_dwordx4 v87, v[20:23], off offset:64
	scratch_load_dwordx4 v[20:23], off, off offset:288
	v_mov_b32_dpp v60, v16 quad_perm:[1,2,3,0] row_mask:0xf bank_mask:0xf
	v_mov_b32_dpp v61, v17 quad_perm:[1,2,3,0] row_mask:0xf bank_mask:0xf
	;; [unrolled: 1-line block ×5, first 2 shown]
	s_waitcnt vmcnt(13)
	v_mov_b32_dpp v52, v52 quad_perm:[3,0,1,2] row_mask:0xf bank_mask:0xf
	v_mov_b32_dpp v53, v53 quad_perm:[3,0,1,2] row_mask:0xf bank_mask:0xf
	;; [unrolled: 1-line block ×4, first 2 shown]
	scratch_store_dwordx4 v88, v[52:55], off offset:64
	scratch_load_dwordx4 v[52:55], off, off offset:304
	s_nop 0
	scratch_store_dwordx4 v89, v[36:39], off offset:64
	scratch_store_dwordx4 v91, v[60:63], off
	scratch_load_dwordx4 v[94:97], off, off offset:368
	s_nop 0
	scratch_load_dwordx4 v[36:39], off, off offset:336
	v_mov_b32_dpp v60, v4 quad_perm:[2,3,0,1] row_mask:0xf bank_mask:0xf
	scratch_store_dwordx4 v87, v[24:27], off offset:128
	scratch_load_dwordx4 v[24:27], off, off offset:352
	v_mov_b32_dpp v61, v5 quad_perm:[2,3,0,1] row_mask:0xf bank_mask:0xf
	scratch_store_dwordx4 v88, v[12:15], off offset:128
	scratch_store_dwordx4 v89, v[56:59], off offset:128
	v_mov_b32_dpp v62, v6 quad_perm:[2,3,0,1] row_mask:0xf bank_mask:0xf
	v_mov_b32_dpp v12, v44 quad_perm:[1,2,3,0] row_mask:0xf bank_mask:0xf
	;; [unrolled: 1-line block ×5, first 2 shown]
	scratch_store_dwordx4 v90, v[12:15], off offset:128
	v_mov_b32_dpp v63, v7 quad_perm:[2,3,0,1] row_mask:0xf bank_mask:0xf
	scratch_store_dwordx4 v87, v[40:43], off offset:192
	v_mov_b32_dpp v12, v48 quad_perm:[1,2,3,0] row_mask:0xf bank_mask:0xf
	v_mov_b32_dpp v13, v49 quad_perm:[1,2,3,0] row_mask:0xf bank_mask:0xf
	;; [unrolled: 1-line block ×4, first 2 shown]
	scratch_store_dwordx4 v88, v[28:31], off offset:192
	scratch_store_dwordx4 v89, v[60:63], off offset:192
	scratch_store_dwordx4 v92, v[12:15], off
	scratch_load_dwordx4 v[98:101], off, off offset:400
	scratch_load_dwordx4 v[102:105], off, off offset:416
	;; [unrolled: 1-line block ×4, first 2 shown]
	s_nop 0
	scratch_store_dwordx4 off, v[0:3], off offset:160
	scratch_store_dwordx4 off, v[4:7], off offset:176
	;; [unrolled: 1-line block ×6, first 2 shown]
	scratch_load_dwordx4 v[0:3], off, off offset:480
	scratch_load_dwordx4 v[60:63], off, off offset:256
	s_waitcnt vmcnt(29)
	v_mov_b32_dpp v12, v32 quad_perm:[1,2,3,0] row_mask:0xf bank_mask:0xf
	v_mov_b32_dpp v13, v33 quad_perm:[1,2,3,0] row_mask:0xf bank_mask:0xf
	;; [unrolled: 1-line block ×4, first 2 shown]
	s_waitcnt vmcnt(27)
	v_mov_b32_dpp v56, v20 quad_perm:[2,3,0,1] row_mask:0xf bank_mask:0xf
	v_mov_b32_dpp v57, v21 quad_perm:[2,3,0,1] row_mask:0xf bank_mask:0xf
	;; [unrolled: 1-line block ×4, first 2 shown]
	s_waitcnt vmcnt(25)
	v_mov_b32_dpp v48, v52 quad_perm:[3,0,1,2] row_mask:0xf bank_mask:0xf
	v_mov_b32_dpp v49, v53 quad_perm:[3,0,1,2] row_mask:0xf bank_mask:0xf
	s_waitcnt vmcnt(22)
	v_mov_b32_dpp v32, v94 quad_perm:[3,0,1,2] row_mask:0xf bank_mask:0xf
	v_mov_b32_dpp v33, v95 quad_perm:[3,0,1,2] row_mask:0xf bank_mask:0xf
	;; [unrolled: 1-line block ×4, first 2 shown]
	scratch_load_dwordx4 v[94:97], off, off offset:496
	v_mov_b32_dpp v50, v54 quad_perm:[3,0,1,2] row_mask:0xf bank_mask:0xf
	v_mov_b32_dpp v51, v55 quad_perm:[3,0,1,2] row_mask:0xf bank_mask:0xf
	scratch_load_dwordx4 v[52:55], off, off offset:320
	s_waitcnt vmcnt(23)
	v_mov_b32_dpp v44, v36 quad_perm:[1,2,3,0] row_mask:0xf bank_mask:0xf
	v_mov_b32_dpp v45, v37 quad_perm:[1,2,3,0] row_mask:0xf bank_mask:0xf
	;; [unrolled: 1-line block ×4, first 2 shown]
	s_waitcnt vmcnt(21)
	v_mov_b32_dpp v40, v24 quad_perm:[2,3,0,1] row_mask:0xf bank_mask:0xf
	v_mov_b32_dpp v41, v25 quad_perm:[2,3,0,1] row_mask:0xf bank_mask:0xf
	;; [unrolled: 1-line block ×4, first 2 shown]
	scratch_load_dwordx4 v[36:39], off, off offset:384
	scratch_load_dwordx4 v[24:27], off, off offset:448
	; wave barrier
	s_waitcnt vmcnt(15)
	v_mov_b32_dpp v16, v98 quad_perm:[1,2,3,0] row_mask:0xf bank_mask:0xf
	v_mov_b32_dpp v17, v99 quad_perm:[1,2,3,0] row_mask:0xf bank_mask:0xf
	v_mov_b32_dpp v18, v100 quad_perm:[1,2,3,0] row_mask:0xf bank_mask:0xf
	v_mov_b32_dpp v19, v101 quad_perm:[1,2,3,0] row_mask:0xf bank_mask:0xf
	s_waitcnt vmcnt(14)
	v_mov_b32_dpp v28, v102 quad_perm:[2,3,0,1] row_mask:0xf bank_mask:0xf
	v_mov_b32_dpp v29, v103 quad_perm:[2,3,0,1] row_mask:0xf bank_mask:0xf
	v_mov_b32_dpp v30, v104 quad_perm:[2,3,0,1] row_mask:0xf bank_mask:0xf
	v_mov_b32_dpp v31, v105 quad_perm:[2,3,0,1] row_mask:0xf bank_mask:0xf
	;; [unrolled: 5-line block ×6, first 2 shown]
	s_cbranch_scc1 .LBB57_2
	s_branch .LBB57_4
.LBB57_3:
	v_mov_b32_e32 v65, 0
	v_mov_b64_e32 v[62:63], 0
	v_mov_b64_e32 v[2:3], 0
	v_mov_b32_e32 v13, v65
	v_mov_b32_e32 v57, v65
	;; [unrolled: 1-line block ×13, first 2 shown]
	v_mov_b64_e32 v[60:61], v[64:65]
	v_mov_b64_e32 v[14:15], v[62:63]
	;; [unrolled: 1-line block ×13, first 2 shown]
	v_mov_b32_e32 v5, v65
	v_mov_b64_e32 v[6:7], v[62:63]
	v_mov_b32_e32 v21, v65
	v_mov_b64_e32 v[22:23], v[62:63]
.LBB57_4:
	s_load_dwordx2 s[0:1], s[0:1], 0x0
	v_lshl_or_b32 v64, s2, 12, v64
	v_mov_b32_e32 v65, 0
	s_waitcnt lgkmcnt(0)
	v_lshl_add_u64 v[64:65], v[64:65], 4, s[0:1]
	global_store_dwordx4 v[64:65], v[60:63], off
	global_store_dwordx4 v[64:65], v[12:15], off offset:16
	global_store_dwordx4 v[64:65], v[56:59], off offset:32
	global_store_dwordx4 v[64:65], v[48:51], off offset:48
	s_waitcnt vmcnt(6)
	global_store_dwordx4 v[64:65], v[52:55], off offset:64
	global_store_dwordx4 v[64:65], v[44:47], off offset:80
	global_store_dwordx4 v[64:65], v[40:43], off offset:96
	global_store_dwordx4 v[64:65], v[32:35], off offset:112
	s_waitcnt vmcnt(9)
	global_store_dwordx4 v[64:65], v[36:39], off offset:128
	;; [unrolled: 5-line block ×3, first 2 shown]
	global_store_dwordx4 v[64:65], v[4:7], off offset:208
	global_store_dwordx4 v[64:65], v[20:23], off offset:224
	;; [unrolled: 1-line block ×3, first 2 shown]
	s_endpgm
	.section	.rodata,"a",@progbits
	.p2align	6, 0x0
	.amdhsa_kernel _Z20warp_exchange_kernelILj256ELj16ELj32EN6common25StripedToBlockedShuffleOpEnEvPT3_j
		.amdhsa_group_segment_fixed_size 0
		.amdhsa_private_segment_fixed_size 528
		.amdhsa_kernarg_size 12
		.amdhsa_user_sgpr_count 2
		.amdhsa_user_sgpr_dispatch_ptr 0
		.amdhsa_user_sgpr_queue_ptr 0
		.amdhsa_user_sgpr_kernarg_segment_ptr 1
		.amdhsa_user_sgpr_dispatch_id 0
		.amdhsa_user_sgpr_kernarg_preload_length 0
		.amdhsa_user_sgpr_kernarg_preload_offset 0
		.amdhsa_user_sgpr_private_segment_size 0
		.amdhsa_uses_dynamic_stack 0
		.amdhsa_enable_private_segment 1
		.amdhsa_system_sgpr_workgroup_id_x 1
		.amdhsa_system_sgpr_workgroup_id_y 0
		.amdhsa_system_sgpr_workgroup_id_z 0
		.amdhsa_system_sgpr_workgroup_info 0
		.amdhsa_system_vgpr_workitem_id 0
		.amdhsa_next_free_vgpr 114
		.amdhsa_next_free_sgpr 4
		.amdhsa_accum_offset 116
		.amdhsa_reserve_vcc 0
		.amdhsa_float_round_mode_32 0
		.amdhsa_float_round_mode_16_64 0
		.amdhsa_float_denorm_mode_32 3
		.amdhsa_float_denorm_mode_16_64 3
		.amdhsa_dx10_clamp 1
		.amdhsa_ieee_mode 1
		.amdhsa_fp16_overflow 0
		.amdhsa_tg_split 0
		.amdhsa_exception_fp_ieee_invalid_op 0
		.amdhsa_exception_fp_denorm_src 0
		.amdhsa_exception_fp_ieee_div_zero 0
		.amdhsa_exception_fp_ieee_overflow 0
		.amdhsa_exception_fp_ieee_underflow 0
		.amdhsa_exception_fp_ieee_inexact 0
		.amdhsa_exception_int_div_zero 0
	.end_amdhsa_kernel
	.section	.text._Z20warp_exchange_kernelILj256ELj16ELj32EN6common25StripedToBlockedShuffleOpEnEvPT3_j,"axG",@progbits,_Z20warp_exchange_kernelILj256ELj16ELj32EN6common25StripedToBlockedShuffleOpEnEvPT3_j,comdat
.Lfunc_end57:
	.size	_Z20warp_exchange_kernelILj256ELj16ELj32EN6common25StripedToBlockedShuffleOpEnEvPT3_j, .Lfunc_end57-_Z20warp_exchange_kernelILj256ELj16ELj32EN6common25StripedToBlockedShuffleOpEnEvPT3_j
                                        ; -- End function
	.section	.AMDGPU.csdata,"",@progbits
; Kernel info:
; codeLenInByte = 3596
; NumSgprs: 10
; NumVgprs: 114
; NumAgprs: 0
; TotalNumVgprs: 114
; ScratchSize: 528
; MemoryBound: 0
; FloatMode: 240
; IeeeMode: 1
; LDSByteSize: 0 bytes/workgroup (compile time only)
; SGPRBlocks: 1
; VGPRBlocks: 14
; NumSGPRsForWavesPerEU: 10
; NumVGPRsForWavesPerEU: 114
; AccumOffset: 116
; Occupancy: 4
; WaveLimiterHint : 1
; COMPUTE_PGM_RSRC2:SCRATCH_EN: 1
; COMPUTE_PGM_RSRC2:USER_SGPR: 2
; COMPUTE_PGM_RSRC2:TRAP_HANDLER: 0
; COMPUTE_PGM_RSRC2:TGID_X_EN: 1
; COMPUTE_PGM_RSRC2:TGID_Y_EN: 0
; COMPUTE_PGM_RSRC2:TGID_Z_EN: 0
; COMPUTE_PGM_RSRC2:TIDIG_COMP_CNT: 0
; COMPUTE_PGM_RSRC3_GFX90A:ACCUM_OFFSET: 28
; COMPUTE_PGM_RSRC3_GFX90A:TG_SPLIT: 0
	.section	.text._Z20warp_exchange_kernelILj256ELj1ELj16E18ScatterToStripedOpnEvPT3_j,"axG",@progbits,_Z20warp_exchange_kernelILj256ELj1ELj16E18ScatterToStripedOpnEvPT3_j,comdat
	.protected	_Z20warp_exchange_kernelILj256ELj1ELj16E18ScatterToStripedOpnEvPT3_j ; -- Begin function _Z20warp_exchange_kernelILj256ELj1ELj16E18ScatterToStripedOpnEvPT3_j
	.globl	_Z20warp_exchange_kernelILj256ELj1ELj16E18ScatterToStripedOpnEvPT3_j
	.p2align	8
	.type	_Z20warp_exchange_kernelILj256ELj1ELj16E18ScatterToStripedOpnEvPT3_j,@function
_Z20warp_exchange_kernelILj256ELj1ELj16E18ScatterToStripedOpnEvPT3_j: ; @_Z20warp_exchange_kernelILj256ELj1ELj16E18ScatterToStripedOpnEvPT3_j
; %bb.0:
	s_load_dword s3, s[0:1], 0x8
	v_mov_b32_e32 v1, 0
	s_waitcnt lgkmcnt(0)
	s_cmp_eq_u32 s3, 0
	s_cbranch_scc1 .LBB58_3
; %bb.1:
	v_mbcnt_lo_u32_b32 v6, -1, 0
	v_not_b32_e32 v2, v0
	v_lshlrev_b32_e32 v3, 4, v0
	v_mbcnt_hi_u32_b32 v6, -1, v6
	v_and_b32_e32 v2, 15, v2
	v_and_b32_e32 v3, 0xf00, v3
	;; [unrolled: 1-line block ×3, first 2 shown]
	v_mov_b64_e32 v[4:5], 0
	v_lshl_or_b32 v6, v2, 4, v3
	v_lshl_or_b32 v7, v7, 4, v3
	v_mov_b64_e32 v[2:3], v[0:1]
.LBB58_2:                               ; =>This Inner Loop Header: Depth=1
	s_waitcnt lgkmcnt(0)
	ds_write_b128 v6, v[2:5]
	; wave barrier
	ds_read_b128 v[2:5], v7
	s_add_i32 s3, s3, -1
	s_cmp_lg_u32 s3, 0
	; wave barrier
	s_cbranch_scc1 .LBB58_2
	s_branch .LBB58_4
.LBB58_3:
	v_mov_b64_e32 v[4:5], 0
	v_mov_b64_e32 v[2:3], v[0:1]
.LBB58_4:
	s_load_dwordx2 s[0:1], s[0:1], 0x0
	v_lshl_or_b32 v0, s2, 8, v0
	v_mov_b32_e32 v1, 0
	s_waitcnt lgkmcnt(0)
	v_lshl_add_u64 v[0:1], v[0:1], 4, s[0:1]
	global_store_dwordx4 v[0:1], v[2:5], off
	s_endpgm
	.section	.rodata,"a",@progbits
	.p2align	6, 0x0
	.amdhsa_kernel _Z20warp_exchange_kernelILj256ELj1ELj16E18ScatterToStripedOpnEvPT3_j
		.amdhsa_group_segment_fixed_size 4096
		.amdhsa_private_segment_fixed_size 0
		.amdhsa_kernarg_size 12
		.amdhsa_user_sgpr_count 2
		.amdhsa_user_sgpr_dispatch_ptr 0
		.amdhsa_user_sgpr_queue_ptr 0
		.amdhsa_user_sgpr_kernarg_segment_ptr 1
		.amdhsa_user_sgpr_dispatch_id 0
		.amdhsa_user_sgpr_kernarg_preload_length 0
		.amdhsa_user_sgpr_kernarg_preload_offset 0
		.amdhsa_user_sgpr_private_segment_size 0
		.amdhsa_uses_dynamic_stack 0
		.amdhsa_enable_private_segment 0
		.amdhsa_system_sgpr_workgroup_id_x 1
		.amdhsa_system_sgpr_workgroup_id_y 0
		.amdhsa_system_sgpr_workgroup_id_z 0
		.amdhsa_system_sgpr_workgroup_info 0
		.amdhsa_system_vgpr_workitem_id 0
		.amdhsa_next_free_vgpr 8
		.amdhsa_next_free_sgpr 4
		.amdhsa_accum_offset 8
		.amdhsa_reserve_vcc 0
		.amdhsa_float_round_mode_32 0
		.amdhsa_float_round_mode_16_64 0
		.amdhsa_float_denorm_mode_32 3
		.amdhsa_float_denorm_mode_16_64 3
		.amdhsa_dx10_clamp 1
		.amdhsa_ieee_mode 1
		.amdhsa_fp16_overflow 0
		.amdhsa_tg_split 0
		.amdhsa_exception_fp_ieee_invalid_op 0
		.amdhsa_exception_fp_denorm_src 0
		.amdhsa_exception_fp_ieee_div_zero 0
		.amdhsa_exception_fp_ieee_overflow 0
		.amdhsa_exception_fp_ieee_underflow 0
		.amdhsa_exception_fp_ieee_inexact 0
		.amdhsa_exception_int_div_zero 0
	.end_amdhsa_kernel
	.section	.text._Z20warp_exchange_kernelILj256ELj1ELj16E18ScatterToStripedOpnEvPT3_j,"axG",@progbits,_Z20warp_exchange_kernelILj256ELj1ELj16E18ScatterToStripedOpnEvPT3_j,comdat
.Lfunc_end58:
	.size	_Z20warp_exchange_kernelILj256ELj1ELj16E18ScatterToStripedOpnEvPT3_j, .Lfunc_end58-_Z20warp_exchange_kernelILj256ELj1ELj16E18ScatterToStripedOpnEvPT3_j
                                        ; -- End function
	.section	.AMDGPU.csdata,"",@progbits
; Kernel info:
; codeLenInByte = 176
; NumSgprs: 10
; NumVgprs: 8
; NumAgprs: 0
; TotalNumVgprs: 8
; ScratchSize: 0
; MemoryBound: 0
; FloatMode: 240
; IeeeMode: 1
; LDSByteSize: 4096 bytes/workgroup (compile time only)
; SGPRBlocks: 1
; VGPRBlocks: 0
; NumSGPRsForWavesPerEU: 10
; NumVGPRsForWavesPerEU: 8
; AccumOffset: 8
; Occupancy: 8
; WaveLimiterHint : 0
; COMPUTE_PGM_RSRC2:SCRATCH_EN: 0
; COMPUTE_PGM_RSRC2:USER_SGPR: 2
; COMPUTE_PGM_RSRC2:TRAP_HANDLER: 0
; COMPUTE_PGM_RSRC2:TGID_X_EN: 1
; COMPUTE_PGM_RSRC2:TGID_Y_EN: 0
; COMPUTE_PGM_RSRC2:TGID_Z_EN: 0
; COMPUTE_PGM_RSRC2:TIDIG_COMP_CNT: 0
; COMPUTE_PGM_RSRC3_GFX90A:ACCUM_OFFSET: 1
; COMPUTE_PGM_RSRC3_GFX90A:TG_SPLIT: 0
	.section	.text._Z20warp_exchange_kernelILj256ELj1ELj32E18ScatterToStripedOpnEvPT3_j,"axG",@progbits,_Z20warp_exchange_kernelILj256ELj1ELj32E18ScatterToStripedOpnEvPT3_j,comdat
	.protected	_Z20warp_exchange_kernelILj256ELj1ELj32E18ScatterToStripedOpnEvPT3_j ; -- Begin function _Z20warp_exchange_kernelILj256ELj1ELj32E18ScatterToStripedOpnEvPT3_j
	.globl	_Z20warp_exchange_kernelILj256ELj1ELj32E18ScatterToStripedOpnEvPT3_j
	.p2align	8
	.type	_Z20warp_exchange_kernelILj256ELj1ELj32E18ScatterToStripedOpnEvPT3_j,@function
_Z20warp_exchange_kernelILj256ELj1ELj32E18ScatterToStripedOpnEvPT3_j: ; @_Z20warp_exchange_kernelILj256ELj1ELj32E18ScatterToStripedOpnEvPT3_j
; %bb.0:
	s_load_dword s3, s[0:1], 0x8
	v_mov_b32_e32 v1, 0
	s_waitcnt lgkmcnt(0)
	s_cmp_eq_u32 s3, 0
	s_cbranch_scc1 .LBB59_3
; %bb.1:
	v_mbcnt_lo_u32_b32 v6, -1, 0
	v_not_b32_e32 v2, v0
	v_lshlrev_b32_e32 v3, 4, v0
	v_mbcnt_hi_u32_b32 v6, -1, v6
	v_and_b32_e32 v2, 31, v2
	v_and_b32_e32 v3, 0xe00, v3
	;; [unrolled: 1-line block ×3, first 2 shown]
	v_mov_b64_e32 v[4:5], 0
	v_lshl_or_b32 v6, v2, 4, v3
	v_lshl_or_b32 v7, v7, 4, v3
	v_mov_b64_e32 v[2:3], v[0:1]
.LBB59_2:                               ; =>This Inner Loop Header: Depth=1
	s_waitcnt lgkmcnt(0)
	ds_write_b128 v6, v[2:5]
	; wave barrier
	ds_read_b128 v[2:5], v7
	s_add_i32 s3, s3, -1
	s_cmp_lg_u32 s3, 0
	; wave barrier
	s_cbranch_scc1 .LBB59_2
	s_branch .LBB59_4
.LBB59_3:
	v_mov_b64_e32 v[4:5], 0
	v_mov_b64_e32 v[2:3], v[0:1]
.LBB59_4:
	s_load_dwordx2 s[0:1], s[0:1], 0x0
	v_lshl_or_b32 v0, s2, 8, v0
	v_mov_b32_e32 v1, 0
	s_waitcnt lgkmcnt(0)
	v_lshl_add_u64 v[0:1], v[0:1], 4, s[0:1]
	global_store_dwordx4 v[0:1], v[2:5], off
	s_endpgm
	.section	.rodata,"a",@progbits
	.p2align	6, 0x0
	.amdhsa_kernel _Z20warp_exchange_kernelILj256ELj1ELj32E18ScatterToStripedOpnEvPT3_j
		.amdhsa_group_segment_fixed_size 4096
		.amdhsa_private_segment_fixed_size 0
		.amdhsa_kernarg_size 12
		.amdhsa_user_sgpr_count 2
		.amdhsa_user_sgpr_dispatch_ptr 0
		.amdhsa_user_sgpr_queue_ptr 0
		.amdhsa_user_sgpr_kernarg_segment_ptr 1
		.amdhsa_user_sgpr_dispatch_id 0
		.amdhsa_user_sgpr_kernarg_preload_length 0
		.amdhsa_user_sgpr_kernarg_preload_offset 0
		.amdhsa_user_sgpr_private_segment_size 0
		.amdhsa_uses_dynamic_stack 0
		.amdhsa_enable_private_segment 0
		.amdhsa_system_sgpr_workgroup_id_x 1
		.amdhsa_system_sgpr_workgroup_id_y 0
		.amdhsa_system_sgpr_workgroup_id_z 0
		.amdhsa_system_sgpr_workgroup_info 0
		.amdhsa_system_vgpr_workitem_id 0
		.amdhsa_next_free_vgpr 8
		.amdhsa_next_free_sgpr 4
		.amdhsa_accum_offset 8
		.amdhsa_reserve_vcc 0
		.amdhsa_float_round_mode_32 0
		.amdhsa_float_round_mode_16_64 0
		.amdhsa_float_denorm_mode_32 3
		.amdhsa_float_denorm_mode_16_64 3
		.amdhsa_dx10_clamp 1
		.amdhsa_ieee_mode 1
		.amdhsa_fp16_overflow 0
		.amdhsa_tg_split 0
		.amdhsa_exception_fp_ieee_invalid_op 0
		.amdhsa_exception_fp_denorm_src 0
		.amdhsa_exception_fp_ieee_div_zero 0
		.amdhsa_exception_fp_ieee_overflow 0
		.amdhsa_exception_fp_ieee_underflow 0
		.amdhsa_exception_fp_ieee_inexact 0
		.amdhsa_exception_int_div_zero 0
	.end_amdhsa_kernel
	.section	.text._Z20warp_exchange_kernelILj256ELj1ELj32E18ScatterToStripedOpnEvPT3_j,"axG",@progbits,_Z20warp_exchange_kernelILj256ELj1ELj32E18ScatterToStripedOpnEvPT3_j,comdat
.Lfunc_end59:
	.size	_Z20warp_exchange_kernelILj256ELj1ELj32E18ScatterToStripedOpnEvPT3_j, .Lfunc_end59-_Z20warp_exchange_kernelILj256ELj1ELj32E18ScatterToStripedOpnEvPT3_j
                                        ; -- End function
	.section	.AMDGPU.csdata,"",@progbits
; Kernel info:
; codeLenInByte = 176
; NumSgprs: 10
; NumVgprs: 8
; NumAgprs: 0
; TotalNumVgprs: 8
; ScratchSize: 0
; MemoryBound: 0
; FloatMode: 240
; IeeeMode: 1
; LDSByteSize: 4096 bytes/workgroup (compile time only)
; SGPRBlocks: 1
; VGPRBlocks: 0
; NumSGPRsForWavesPerEU: 10
; NumVGPRsForWavesPerEU: 8
; AccumOffset: 8
; Occupancy: 8
; WaveLimiterHint : 0
; COMPUTE_PGM_RSRC2:SCRATCH_EN: 0
; COMPUTE_PGM_RSRC2:USER_SGPR: 2
; COMPUTE_PGM_RSRC2:TRAP_HANDLER: 0
; COMPUTE_PGM_RSRC2:TGID_X_EN: 1
; COMPUTE_PGM_RSRC2:TGID_Y_EN: 0
; COMPUTE_PGM_RSRC2:TGID_Z_EN: 0
; COMPUTE_PGM_RSRC2:TIDIG_COMP_CNT: 0
; COMPUTE_PGM_RSRC3_GFX90A:ACCUM_OFFSET: 1
; COMPUTE_PGM_RSRC3_GFX90A:TG_SPLIT: 0
	.section	.text._Z20warp_exchange_kernelILj256ELj4ELj16E18ScatterToStripedOpnEvPT3_j,"axG",@progbits,_Z20warp_exchange_kernelILj256ELj4ELj16E18ScatterToStripedOpnEvPT3_j,comdat
	.protected	_Z20warp_exchange_kernelILj256ELj4ELj16E18ScatterToStripedOpnEvPT3_j ; -- Begin function _Z20warp_exchange_kernelILj256ELj4ELj16E18ScatterToStripedOpnEvPT3_j
	.globl	_Z20warp_exchange_kernelILj256ELj4ELj16E18ScatterToStripedOpnEvPT3_j
	.p2align	8
	.type	_Z20warp_exchange_kernelILj256ELj4ELj16E18ScatterToStripedOpnEvPT3_j,@function
_Z20warp_exchange_kernelILj256ELj4ELj16E18ScatterToStripedOpnEvPT3_j: ; @_Z20warp_exchange_kernelILj256ELj4ELj16E18ScatterToStripedOpnEvPT3_j
; %bb.0:
	s_load_dword s3, s[0:1], 0x8
	v_lshlrev_b32_e32 v18, 2, v0
	v_or_b32_e32 v10, 1, v18
	v_or_b32_e32 v6, 2, v18
	;; [unrolled: 1-line block ×3, first 2 shown]
	s_waitcnt lgkmcnt(0)
	s_cmp_eq_u32 s3, 0
	s_cbranch_scc1 .LBB60_3
; %bb.1:
	v_lshlrev_b32_e32 v0, 6, v0
	v_and_b32_e32 v1, 60, v18
	v_and_b32_e32 v9, 0x3c00, v0
	v_mbcnt_lo_u32_b32 v0, -1, 0
	v_mov_b32_e32 v3, 0
	v_xor_b32_e32 v8, 60, v1
	v_mbcnt_hi_u32_b32 v12, -1, v0
	v_mov_b64_e32 v[4:5], 0
	v_mov_b32_e32 v19, v3
	v_lshl_or_b32 v0, v8, 4, v9
	v_and_b32_e32 v8, 15, v12
	v_mov_b64_e32 v[16:17], 0
	v_mov_b32_e32 v7, v3
	v_mov_b32_e32 v11, v3
	v_lshl_or_b32 v1, v1, 4, v9
	v_lshl_or_b32 v20, v8, 4, v9
	v_mov_b64_e32 v[8:9], v[4:5]
	v_mov_b64_e32 v[12:13], v[4:5]
	;; [unrolled: 1-line block ×3, first 2 shown]
.LBB60_2:                               ; =>This Inner Loop Header: Depth=1
	s_waitcnt lgkmcnt(3)
	ds_write_b128 v0, v[14:17]
	s_waitcnt lgkmcnt(3)
	ds_write_b128 v1, v[10:13] offset:16
	s_waitcnt lgkmcnt(3)
	ds_write_b128 v0, v[6:9] offset:32
	;; [unrolled: 2-line block ×3, first 2 shown]
	; wave barrier
	ds_read_b128 v[14:17], v20
	ds_read_b128 v[10:13], v20 offset:256
	ds_read_b128 v[6:9], v20 offset:512
	;; [unrolled: 1-line block ×3, first 2 shown]
	s_add_i32 s3, s3, -1
	s_cmp_lg_u32 s3, 0
	; wave barrier
	s_cbranch_scc1 .LBB60_2
	s_branch .LBB60_4
.LBB60_3:
	v_mov_b32_e32 v19, 0
	v_mov_b64_e32 v[16:17], 0
	v_mov_b64_e32 v[4:5], 0
	v_mov_b32_e32 v11, v19
	v_mov_b32_e32 v7, v19
	;; [unrolled: 1-line block ×3, first 2 shown]
	v_mov_b64_e32 v[14:15], v[18:19]
	v_mov_b64_e32 v[12:13], v[16:17]
	;; [unrolled: 1-line block ×3, first 2 shown]
.LBB60_4:
	s_load_dwordx2 s[0:1], s[0:1], 0x0
	v_lshl_or_b32 v0, s2, 10, v18
	v_mov_b32_e32 v1, 0
	s_waitcnt lgkmcnt(0)
	v_lshl_add_u64 v[0:1], v[0:1], 4, s[0:1]
	global_store_dwordx4 v[0:1], v[14:17], off
	global_store_dwordx4 v[0:1], v[10:13], off offset:16
	global_store_dwordx4 v[0:1], v[6:9], off offset:32
	;; [unrolled: 1-line block ×3, first 2 shown]
	s_endpgm
	.section	.rodata,"a",@progbits
	.p2align	6, 0x0
	.amdhsa_kernel _Z20warp_exchange_kernelILj256ELj4ELj16E18ScatterToStripedOpnEvPT3_j
		.amdhsa_group_segment_fixed_size 16384
		.amdhsa_private_segment_fixed_size 0
		.amdhsa_kernarg_size 12
		.amdhsa_user_sgpr_count 2
		.amdhsa_user_sgpr_dispatch_ptr 0
		.amdhsa_user_sgpr_queue_ptr 0
		.amdhsa_user_sgpr_kernarg_segment_ptr 1
		.amdhsa_user_sgpr_dispatch_id 0
		.amdhsa_user_sgpr_kernarg_preload_length 0
		.amdhsa_user_sgpr_kernarg_preload_offset 0
		.amdhsa_user_sgpr_private_segment_size 0
		.amdhsa_uses_dynamic_stack 0
		.amdhsa_enable_private_segment 0
		.amdhsa_system_sgpr_workgroup_id_x 1
		.amdhsa_system_sgpr_workgroup_id_y 0
		.amdhsa_system_sgpr_workgroup_id_z 0
		.amdhsa_system_sgpr_workgroup_info 0
		.amdhsa_system_vgpr_workitem_id 0
		.amdhsa_next_free_vgpr 21
		.amdhsa_next_free_sgpr 4
		.amdhsa_accum_offset 24
		.amdhsa_reserve_vcc 0
		.amdhsa_float_round_mode_32 0
		.amdhsa_float_round_mode_16_64 0
		.amdhsa_float_denorm_mode_32 3
		.amdhsa_float_denorm_mode_16_64 3
		.amdhsa_dx10_clamp 1
		.amdhsa_ieee_mode 1
		.amdhsa_fp16_overflow 0
		.amdhsa_tg_split 0
		.amdhsa_exception_fp_ieee_invalid_op 0
		.amdhsa_exception_fp_denorm_src 0
		.amdhsa_exception_fp_ieee_div_zero 0
		.amdhsa_exception_fp_ieee_overflow 0
		.amdhsa_exception_fp_ieee_underflow 0
		.amdhsa_exception_fp_ieee_inexact 0
		.amdhsa_exception_int_div_zero 0
	.end_amdhsa_kernel
	.section	.text._Z20warp_exchange_kernelILj256ELj4ELj16E18ScatterToStripedOpnEvPT3_j,"axG",@progbits,_Z20warp_exchange_kernelILj256ELj4ELj16E18ScatterToStripedOpnEvPT3_j,comdat
.Lfunc_end60:
	.size	_Z20warp_exchange_kernelILj256ELj4ELj16E18ScatterToStripedOpnEvPT3_j, .Lfunc_end60-_Z20warp_exchange_kernelILj256ELj4ELj16E18ScatterToStripedOpnEvPT3_j
                                        ; -- End function
	.section	.AMDGPU.csdata,"",@progbits
; Kernel info:
; codeLenInByte = 336
; NumSgprs: 10
; NumVgprs: 21
; NumAgprs: 0
; TotalNumVgprs: 21
; ScratchSize: 0
; MemoryBound: 0
; FloatMode: 240
; IeeeMode: 1
; LDSByteSize: 16384 bytes/workgroup (compile time only)
; SGPRBlocks: 1
; VGPRBlocks: 2
; NumSGPRsForWavesPerEU: 10
; NumVGPRsForWavesPerEU: 21
; AccumOffset: 24
; Occupancy: 4
; WaveLimiterHint : 0
; COMPUTE_PGM_RSRC2:SCRATCH_EN: 0
; COMPUTE_PGM_RSRC2:USER_SGPR: 2
; COMPUTE_PGM_RSRC2:TRAP_HANDLER: 0
; COMPUTE_PGM_RSRC2:TGID_X_EN: 1
; COMPUTE_PGM_RSRC2:TGID_Y_EN: 0
; COMPUTE_PGM_RSRC2:TGID_Z_EN: 0
; COMPUTE_PGM_RSRC2:TIDIG_COMP_CNT: 0
; COMPUTE_PGM_RSRC3_GFX90A:ACCUM_OFFSET: 5
; COMPUTE_PGM_RSRC3_GFX90A:TG_SPLIT: 0
	.section	.text._Z20warp_exchange_kernelILj256ELj4ELj32E18ScatterToStripedOpnEvPT3_j,"axG",@progbits,_Z20warp_exchange_kernelILj256ELj4ELj32E18ScatterToStripedOpnEvPT3_j,comdat
	.protected	_Z20warp_exchange_kernelILj256ELj4ELj32E18ScatterToStripedOpnEvPT3_j ; -- Begin function _Z20warp_exchange_kernelILj256ELj4ELj32E18ScatterToStripedOpnEvPT3_j
	.globl	_Z20warp_exchange_kernelILj256ELj4ELj32E18ScatterToStripedOpnEvPT3_j
	.p2align	8
	.type	_Z20warp_exchange_kernelILj256ELj4ELj32E18ScatterToStripedOpnEvPT3_j,@function
_Z20warp_exchange_kernelILj256ELj4ELj32E18ScatterToStripedOpnEvPT3_j: ; @_Z20warp_exchange_kernelILj256ELj4ELj32E18ScatterToStripedOpnEvPT3_j
; %bb.0:
	s_load_dword s3, s[0:1], 0x8
	v_lshlrev_b32_e32 v18, 2, v0
	v_or_b32_e32 v10, 1, v18
	v_or_b32_e32 v6, 2, v18
	;; [unrolled: 1-line block ×3, first 2 shown]
	s_waitcnt lgkmcnt(0)
	s_cmp_eq_u32 s3, 0
	s_cbranch_scc1 .LBB61_3
; %bb.1:
	v_lshlrev_b32_e32 v0, 6, v0
	v_and_b32_e32 v1, 0x7c, v18
	v_and_b32_e32 v9, 0x3800, v0
	v_mbcnt_lo_u32_b32 v0, -1, 0
	v_mov_b32_e32 v3, 0
	v_xor_b32_e32 v8, 0x7c, v1
	v_mbcnt_hi_u32_b32 v12, -1, v0
	v_mov_b64_e32 v[4:5], 0
	v_mov_b32_e32 v19, v3
	v_lshl_or_b32 v0, v8, 4, v9
	v_and_b32_e32 v8, 31, v12
	v_mov_b64_e32 v[16:17], 0
	v_mov_b32_e32 v7, v3
	v_mov_b32_e32 v11, v3
	v_lshl_or_b32 v1, v1, 4, v9
	v_lshl_or_b32 v20, v8, 4, v9
	v_mov_b64_e32 v[8:9], v[4:5]
	v_mov_b64_e32 v[12:13], v[4:5]
	;; [unrolled: 1-line block ×3, first 2 shown]
.LBB61_2:                               ; =>This Inner Loop Header: Depth=1
	s_waitcnt lgkmcnt(3)
	ds_write_b128 v0, v[14:17]
	s_waitcnt lgkmcnt(3)
	ds_write_b128 v1, v[10:13] offset:16
	s_waitcnt lgkmcnt(3)
	ds_write_b128 v0, v[6:9] offset:32
	;; [unrolled: 2-line block ×3, first 2 shown]
	; wave barrier
	ds_read_b128 v[14:17], v20
	ds_read_b128 v[10:13], v20 offset:512
	ds_read_b128 v[6:9], v20 offset:1024
	;; [unrolled: 1-line block ×3, first 2 shown]
	s_add_i32 s3, s3, -1
	s_cmp_lg_u32 s3, 0
	; wave barrier
	s_cbranch_scc1 .LBB61_2
	s_branch .LBB61_4
.LBB61_3:
	v_mov_b32_e32 v19, 0
	v_mov_b64_e32 v[16:17], 0
	v_mov_b64_e32 v[4:5], 0
	v_mov_b32_e32 v11, v19
	v_mov_b32_e32 v7, v19
	;; [unrolled: 1-line block ×3, first 2 shown]
	v_mov_b64_e32 v[14:15], v[18:19]
	v_mov_b64_e32 v[12:13], v[16:17]
	;; [unrolled: 1-line block ×3, first 2 shown]
.LBB61_4:
	s_load_dwordx2 s[0:1], s[0:1], 0x0
	v_lshl_or_b32 v0, s2, 10, v18
	v_mov_b32_e32 v1, 0
	s_waitcnt lgkmcnt(0)
	v_lshl_add_u64 v[0:1], v[0:1], 4, s[0:1]
	global_store_dwordx4 v[0:1], v[14:17], off
	global_store_dwordx4 v[0:1], v[10:13], off offset:16
	global_store_dwordx4 v[0:1], v[6:9], off offset:32
	;; [unrolled: 1-line block ×3, first 2 shown]
	s_endpgm
	.section	.rodata,"a",@progbits
	.p2align	6, 0x0
	.amdhsa_kernel _Z20warp_exchange_kernelILj256ELj4ELj32E18ScatterToStripedOpnEvPT3_j
		.amdhsa_group_segment_fixed_size 16384
		.amdhsa_private_segment_fixed_size 0
		.amdhsa_kernarg_size 12
		.amdhsa_user_sgpr_count 2
		.amdhsa_user_sgpr_dispatch_ptr 0
		.amdhsa_user_sgpr_queue_ptr 0
		.amdhsa_user_sgpr_kernarg_segment_ptr 1
		.amdhsa_user_sgpr_dispatch_id 0
		.amdhsa_user_sgpr_kernarg_preload_length 0
		.amdhsa_user_sgpr_kernarg_preload_offset 0
		.amdhsa_user_sgpr_private_segment_size 0
		.amdhsa_uses_dynamic_stack 0
		.amdhsa_enable_private_segment 0
		.amdhsa_system_sgpr_workgroup_id_x 1
		.amdhsa_system_sgpr_workgroup_id_y 0
		.amdhsa_system_sgpr_workgroup_id_z 0
		.amdhsa_system_sgpr_workgroup_info 0
		.amdhsa_system_vgpr_workitem_id 0
		.amdhsa_next_free_vgpr 21
		.amdhsa_next_free_sgpr 4
		.amdhsa_accum_offset 24
		.amdhsa_reserve_vcc 0
		.amdhsa_float_round_mode_32 0
		.amdhsa_float_round_mode_16_64 0
		.amdhsa_float_denorm_mode_32 3
		.amdhsa_float_denorm_mode_16_64 3
		.amdhsa_dx10_clamp 1
		.amdhsa_ieee_mode 1
		.amdhsa_fp16_overflow 0
		.amdhsa_tg_split 0
		.amdhsa_exception_fp_ieee_invalid_op 0
		.amdhsa_exception_fp_denorm_src 0
		.amdhsa_exception_fp_ieee_div_zero 0
		.amdhsa_exception_fp_ieee_overflow 0
		.amdhsa_exception_fp_ieee_underflow 0
		.amdhsa_exception_fp_ieee_inexact 0
		.amdhsa_exception_int_div_zero 0
	.end_amdhsa_kernel
	.section	.text._Z20warp_exchange_kernelILj256ELj4ELj32E18ScatterToStripedOpnEvPT3_j,"axG",@progbits,_Z20warp_exchange_kernelILj256ELj4ELj32E18ScatterToStripedOpnEvPT3_j,comdat
.Lfunc_end61:
	.size	_Z20warp_exchange_kernelILj256ELj4ELj32E18ScatterToStripedOpnEvPT3_j, .Lfunc_end61-_Z20warp_exchange_kernelILj256ELj4ELj32E18ScatterToStripedOpnEvPT3_j
                                        ; -- End function
	.section	.AMDGPU.csdata,"",@progbits
; Kernel info:
; codeLenInByte = 344
; NumSgprs: 10
; NumVgprs: 21
; NumAgprs: 0
; TotalNumVgprs: 21
; ScratchSize: 0
; MemoryBound: 0
; FloatMode: 240
; IeeeMode: 1
; LDSByteSize: 16384 bytes/workgroup (compile time only)
; SGPRBlocks: 1
; VGPRBlocks: 2
; NumSGPRsForWavesPerEU: 10
; NumVGPRsForWavesPerEU: 21
; AccumOffset: 24
; Occupancy: 4
; WaveLimiterHint : 0
; COMPUTE_PGM_RSRC2:SCRATCH_EN: 0
; COMPUTE_PGM_RSRC2:USER_SGPR: 2
; COMPUTE_PGM_RSRC2:TRAP_HANDLER: 0
; COMPUTE_PGM_RSRC2:TGID_X_EN: 1
; COMPUTE_PGM_RSRC2:TGID_Y_EN: 0
; COMPUTE_PGM_RSRC2:TGID_Z_EN: 0
; COMPUTE_PGM_RSRC2:TIDIG_COMP_CNT: 0
; COMPUTE_PGM_RSRC3_GFX90A:ACCUM_OFFSET: 5
; COMPUTE_PGM_RSRC3_GFX90A:TG_SPLIT: 0
	.section	.text._Z20warp_exchange_kernelILj256ELj16ELj16E18ScatterToStripedOpnEvPT3_j,"axG",@progbits,_Z20warp_exchange_kernelILj256ELj16ELj16E18ScatterToStripedOpnEvPT3_j,comdat
	.protected	_Z20warp_exchange_kernelILj256ELj16ELj16E18ScatterToStripedOpnEvPT3_j ; -- Begin function _Z20warp_exchange_kernelILj256ELj16ELj16E18ScatterToStripedOpnEvPT3_j
	.globl	_Z20warp_exchange_kernelILj256ELj16ELj16E18ScatterToStripedOpnEvPT3_j
	.p2align	8
	.type	_Z20warp_exchange_kernelILj256ELj16ELj16E18ScatterToStripedOpnEvPT3_j,@function
_Z20warp_exchange_kernelILj256ELj16ELj16E18ScatterToStripedOpnEvPT3_j: ; @_Z20warp_exchange_kernelILj256ELj16ELj16E18ScatterToStripedOpnEvPT3_j
; %bb.0:
	s_load_dword s3, s[0:1], 0x8
	v_lshlrev_b32_e32 v66, 4, v0
	v_or_b32_e32 v58, 1, v66
	v_or_b32_e32 v54, 2, v66
	;; [unrolled: 1-line block ×14, first 2 shown]
	s_waitcnt lgkmcnt(0)
	s_cmp_eq_u32 s3, 0
	v_or_b32_e32 v2, 15, v66
	s_cbranch_scc1 .LBB62_3
; %bb.1:
	v_lshlrev_b32_e32 v0, 8, v0
	v_and_b32_e32 v5, 0xf000, v0
	v_mbcnt_lo_u32_b32 v0, -1, 0
	v_mov_b32_e32 v3, 0
	v_and_b32_e32 v4, 0xf0, v66
	v_mbcnt_hi_u32_b32 v0, -1, v0
	v_mov_b64_e32 v[60:61], 0
	v_mov_b32_e32 v67, v3
	v_xor_b32_e32 v1, 0xf0, v4
	v_and_b32_e32 v0, 15, v0
	v_mov_b64_e32 v[64:65], 0
	v_mov_b32_e32 v7, v3
	v_mov_b32_e32 v11, v3
	;; [unrolled: 1-line block ×14, first 2 shown]
	v_lshl_or_b32 v0, v0, 4, v5
	v_lshl_or_b32 v1, v1, 4, v5
	;; [unrolled: 1-line block ×3, first 2 shown]
	v_mov_b64_e32 v[62:63], v[66:67]
	v_mov_b64_e32 v[56:57], v[60:61]
	;; [unrolled: 1-line block ×15, first 2 shown]
.LBB62_2:                               ; =>This Inner Loop Header: Depth=1
	s_waitcnt lgkmcnt(14)
	ds_write_b128 v1, v[62:65]
	ds_write_b128 v68, v[58:61] offset:16
	s_waitcnt lgkmcnt(14)
	ds_write_b128 v1, v[54:57] offset:32
	ds_write_b128 v68, v[50:53] offset:48
	s_waitcnt lgkmcnt(14)
	ds_write_b128 v1, v[46:49] offset:64
	ds_write_b128 v68, v[42:45] offset:80
	s_waitcnt lgkmcnt(14)
	ds_write_b128 v1, v[38:41] offset:96
	ds_write_b128 v68, v[34:37] offset:112
	s_waitcnt lgkmcnt(14)
	ds_write_b128 v1, v[30:33] offset:128
	ds_write_b128 v68, v[26:29] offset:144
	s_waitcnt lgkmcnt(14)
	ds_write_b128 v1, v[22:25] offset:160
	ds_write_b128 v68, v[18:21] offset:176
	s_waitcnt lgkmcnt(14)
	ds_write_b128 v1, v[14:17] offset:192
	ds_write_b128 v68, v[10:13] offset:208
	s_waitcnt lgkmcnt(14)
	ds_write_b128 v1, v[6:9] offset:224
	ds_write_b128 v68, v[2:5] offset:240
	; wave barrier
	ds_read_b128 v[62:65], v0
	ds_read_b128 v[58:61], v0 offset:256
	ds_read_b128 v[54:57], v0 offset:512
	;; [unrolled: 1-line block ×15, first 2 shown]
	s_add_i32 s3, s3, -1
	s_cmp_lg_u32 s3, 0
	; wave barrier
	s_cbranch_scc1 .LBB62_2
	s_branch .LBB62_4
.LBB62_3:
	v_mov_b32_e32 v67, 0
	v_mov_b64_e32 v[8:9], 0
	v_mov_b64_e32 v[4:5], 0
	v_mov_b32_e32 v59, v67
	v_mov_b32_e32 v55, v67
	;; [unrolled: 1-line block ×15, first 2 shown]
	v_mov_b64_e32 v[12:13], v[8:9]
	v_mov_b64_e32 v[16:17], v[8:9]
	;; [unrolled: 1-line block ×15, first 2 shown]
.LBB62_4:
	s_load_dwordx2 s[0:1], s[0:1], 0x0
	v_lshl_or_b32 v0, s2, 12, v66
	v_mov_b32_e32 v1, 0
	s_waitcnt lgkmcnt(0)
	v_lshl_add_u64 v[0:1], v[0:1], 4, s[0:1]
	global_store_dwordx4 v[0:1], v[62:65], off
	global_store_dwordx4 v[0:1], v[58:61], off offset:16
	global_store_dwordx4 v[0:1], v[54:57], off offset:32
	;; [unrolled: 1-line block ×15, first 2 shown]
	s_endpgm
	.section	.rodata,"a",@progbits
	.p2align	6, 0x0
	.amdhsa_kernel _Z20warp_exchange_kernelILj256ELj16ELj16E18ScatterToStripedOpnEvPT3_j
		.amdhsa_group_segment_fixed_size 65536
		.amdhsa_private_segment_fixed_size 0
		.amdhsa_kernarg_size 12
		.amdhsa_user_sgpr_count 2
		.amdhsa_user_sgpr_dispatch_ptr 0
		.amdhsa_user_sgpr_queue_ptr 0
		.amdhsa_user_sgpr_kernarg_segment_ptr 1
		.amdhsa_user_sgpr_dispatch_id 0
		.amdhsa_user_sgpr_kernarg_preload_length 0
		.amdhsa_user_sgpr_kernarg_preload_offset 0
		.amdhsa_user_sgpr_private_segment_size 0
		.amdhsa_uses_dynamic_stack 0
		.amdhsa_enable_private_segment 0
		.amdhsa_system_sgpr_workgroup_id_x 1
		.amdhsa_system_sgpr_workgroup_id_y 0
		.amdhsa_system_sgpr_workgroup_id_z 0
		.amdhsa_system_sgpr_workgroup_info 0
		.amdhsa_system_vgpr_workitem_id 0
		.amdhsa_next_free_vgpr 69
		.amdhsa_next_free_sgpr 4
		.amdhsa_accum_offset 72
		.amdhsa_reserve_vcc 0
		.amdhsa_float_round_mode_32 0
		.amdhsa_float_round_mode_16_64 0
		.amdhsa_float_denorm_mode_32 3
		.amdhsa_float_denorm_mode_16_64 3
		.amdhsa_dx10_clamp 1
		.amdhsa_ieee_mode 1
		.amdhsa_fp16_overflow 0
		.amdhsa_tg_split 0
		.amdhsa_exception_fp_ieee_invalid_op 0
		.amdhsa_exception_fp_denorm_src 0
		.amdhsa_exception_fp_ieee_div_zero 0
		.amdhsa_exception_fp_ieee_overflow 0
		.amdhsa_exception_fp_ieee_underflow 0
		.amdhsa_exception_fp_ieee_inexact 0
		.amdhsa_exception_int_div_zero 0
	.end_amdhsa_kernel
	.section	.text._Z20warp_exchange_kernelILj256ELj16ELj16E18ScatterToStripedOpnEvPT3_j,"axG",@progbits,_Z20warp_exchange_kernelILj256ELj16ELj16E18ScatterToStripedOpnEvPT3_j,comdat
.Lfunc_end62:
	.size	_Z20warp_exchange_kernelILj256ELj16ELj16E18ScatterToStripedOpnEvPT3_j, .Lfunc_end62-_Z20warp_exchange_kernelILj256ELj16ELj16E18ScatterToStripedOpnEvPT3_j
                                        ; -- End function
	.section	.AMDGPU.csdata,"",@progbits
; Kernel info:
; codeLenInByte = 888
; NumSgprs: 10
; NumVgprs: 69
; NumAgprs: 0
; TotalNumVgprs: 69
; ScratchSize: 0
; MemoryBound: 1
; FloatMode: 240
; IeeeMode: 1
; LDSByteSize: 65536 bytes/workgroup (compile time only)
; SGPRBlocks: 1
; VGPRBlocks: 8
; NumSGPRsForWavesPerEU: 10
; NumVGPRsForWavesPerEU: 69
; AccumOffset: 72
; Occupancy: 1
; WaveLimiterHint : 1
; COMPUTE_PGM_RSRC2:SCRATCH_EN: 0
; COMPUTE_PGM_RSRC2:USER_SGPR: 2
; COMPUTE_PGM_RSRC2:TRAP_HANDLER: 0
; COMPUTE_PGM_RSRC2:TGID_X_EN: 1
; COMPUTE_PGM_RSRC2:TGID_Y_EN: 0
; COMPUTE_PGM_RSRC2:TGID_Z_EN: 0
; COMPUTE_PGM_RSRC2:TIDIG_COMP_CNT: 0
; COMPUTE_PGM_RSRC3_GFX90A:ACCUM_OFFSET: 17
; COMPUTE_PGM_RSRC3_GFX90A:TG_SPLIT: 0
	.section	.text._Z20warp_exchange_kernelILj256ELj16ELj32E18ScatterToStripedOpnEvPT3_j,"axG",@progbits,_Z20warp_exchange_kernelILj256ELj16ELj32E18ScatterToStripedOpnEvPT3_j,comdat
	.protected	_Z20warp_exchange_kernelILj256ELj16ELj32E18ScatterToStripedOpnEvPT3_j ; -- Begin function _Z20warp_exchange_kernelILj256ELj16ELj32E18ScatterToStripedOpnEvPT3_j
	.globl	_Z20warp_exchange_kernelILj256ELj16ELj32E18ScatterToStripedOpnEvPT3_j
	.p2align	8
	.type	_Z20warp_exchange_kernelILj256ELj16ELj32E18ScatterToStripedOpnEvPT3_j,@function
_Z20warp_exchange_kernelILj256ELj16ELj32E18ScatterToStripedOpnEvPT3_j: ; @_Z20warp_exchange_kernelILj256ELj16ELj32E18ScatterToStripedOpnEvPT3_j
; %bb.0:
	s_load_dword s3, s[0:1], 0x8
	v_lshlrev_b32_e32 v66, 4, v0
	v_or_b32_e32 v58, 1, v66
	v_or_b32_e32 v54, 2, v66
	;; [unrolled: 1-line block ×14, first 2 shown]
	s_waitcnt lgkmcnt(0)
	s_cmp_eq_u32 s3, 0
	v_or_b32_e32 v2, 15, v66
	s_cbranch_scc1 .LBB63_3
; %bb.1:
	v_lshlrev_b32_e32 v0, 8, v0
	v_and_b32_e32 v5, 0xe000, v0
	v_mbcnt_lo_u32_b32 v0, -1, 0
	v_mov_b32_e32 v3, 0
	v_and_b32_e32 v4, 0x1f0, v66
	v_mbcnt_hi_u32_b32 v0, -1, v0
	v_mov_b64_e32 v[60:61], 0
	v_mov_b32_e32 v67, v3
	v_xor_b32_e32 v1, 0x1f0, v4
	v_and_b32_e32 v0, 31, v0
	v_mov_b64_e32 v[64:65], 0
	v_mov_b32_e32 v7, v3
	v_mov_b32_e32 v11, v3
	;; [unrolled: 1-line block ×14, first 2 shown]
	v_lshl_or_b32 v0, v0, 4, v5
	v_lshl_or_b32 v1, v1, 4, v5
	v_lshl_or_b32 v68, v4, 4, v5
	v_mov_b64_e32 v[62:63], v[66:67]
	v_mov_b64_e32 v[56:57], v[60:61]
	;; [unrolled: 1-line block ×15, first 2 shown]
.LBB63_2:                               ; =>This Inner Loop Header: Depth=1
	s_waitcnt lgkmcnt(14)
	ds_write_b128 v1, v[62:65]
	ds_write_b128 v68, v[58:61] offset:16
	s_waitcnt lgkmcnt(14)
	ds_write_b128 v1, v[54:57] offset:32
	ds_write_b128 v68, v[50:53] offset:48
	s_waitcnt lgkmcnt(14)
	ds_write_b128 v1, v[46:49] offset:64
	;; [unrolled: 3-line block ×7, first 2 shown]
	ds_write_b128 v68, v[2:5] offset:240
	; wave barrier
	ds_read_b128 v[62:65], v0
	ds_read_b128 v[58:61], v0 offset:512
	ds_read_b128 v[54:57], v0 offset:1024
	;; [unrolled: 1-line block ×15, first 2 shown]
	s_add_i32 s3, s3, -1
	s_cmp_lg_u32 s3, 0
	; wave barrier
	s_cbranch_scc1 .LBB63_2
	s_branch .LBB63_4
.LBB63_3:
	v_mov_b32_e32 v67, 0
	v_mov_b64_e32 v[8:9], 0
	v_mov_b64_e32 v[4:5], 0
	v_mov_b32_e32 v59, v67
	v_mov_b32_e32 v55, v67
	v_mov_b32_e32 v51, v67
	v_mov_b32_e32 v47, v67
	v_mov_b32_e32 v43, v67
	v_mov_b32_e32 v39, v67
	v_mov_b32_e32 v35, v67
	v_mov_b32_e32 v31, v67
	v_mov_b32_e32 v27, v67
	v_mov_b32_e32 v23, v67
	v_mov_b32_e32 v19, v67
	v_mov_b32_e32 v15, v67
	v_mov_b32_e32 v11, v67
	v_mov_b32_e32 v7, v67
	v_mov_b32_e32 v3, v67
	v_mov_b64_e32 v[12:13], v[8:9]
	v_mov_b64_e32 v[16:17], v[8:9]
	;; [unrolled: 1-line block ×15, first 2 shown]
.LBB63_4:
	s_load_dwordx2 s[0:1], s[0:1], 0x0
	v_lshl_or_b32 v0, s2, 12, v66
	v_mov_b32_e32 v1, 0
	s_waitcnt lgkmcnt(0)
	v_lshl_add_u64 v[0:1], v[0:1], 4, s[0:1]
	global_store_dwordx4 v[0:1], v[62:65], off
	global_store_dwordx4 v[0:1], v[58:61], off offset:16
	global_store_dwordx4 v[0:1], v[54:57], off offset:32
	;; [unrolled: 1-line block ×15, first 2 shown]
	s_endpgm
	.section	.rodata,"a",@progbits
	.p2align	6, 0x0
	.amdhsa_kernel _Z20warp_exchange_kernelILj256ELj16ELj32E18ScatterToStripedOpnEvPT3_j
		.amdhsa_group_segment_fixed_size 65536
		.amdhsa_private_segment_fixed_size 0
		.amdhsa_kernarg_size 12
		.amdhsa_user_sgpr_count 2
		.amdhsa_user_sgpr_dispatch_ptr 0
		.amdhsa_user_sgpr_queue_ptr 0
		.amdhsa_user_sgpr_kernarg_segment_ptr 1
		.amdhsa_user_sgpr_dispatch_id 0
		.amdhsa_user_sgpr_kernarg_preload_length 0
		.amdhsa_user_sgpr_kernarg_preload_offset 0
		.amdhsa_user_sgpr_private_segment_size 0
		.amdhsa_uses_dynamic_stack 0
		.amdhsa_enable_private_segment 0
		.amdhsa_system_sgpr_workgroup_id_x 1
		.amdhsa_system_sgpr_workgroup_id_y 0
		.amdhsa_system_sgpr_workgroup_id_z 0
		.amdhsa_system_sgpr_workgroup_info 0
		.amdhsa_system_vgpr_workitem_id 0
		.amdhsa_next_free_vgpr 69
		.amdhsa_next_free_sgpr 4
		.amdhsa_accum_offset 72
		.amdhsa_reserve_vcc 0
		.amdhsa_float_round_mode_32 0
		.amdhsa_float_round_mode_16_64 0
		.amdhsa_float_denorm_mode_32 3
		.amdhsa_float_denorm_mode_16_64 3
		.amdhsa_dx10_clamp 1
		.amdhsa_ieee_mode 1
		.amdhsa_fp16_overflow 0
		.amdhsa_tg_split 0
		.amdhsa_exception_fp_ieee_invalid_op 0
		.amdhsa_exception_fp_denorm_src 0
		.amdhsa_exception_fp_ieee_div_zero 0
		.amdhsa_exception_fp_ieee_overflow 0
		.amdhsa_exception_fp_ieee_underflow 0
		.amdhsa_exception_fp_ieee_inexact 0
		.amdhsa_exception_int_div_zero 0
	.end_amdhsa_kernel
	.section	.text._Z20warp_exchange_kernelILj256ELj16ELj32E18ScatterToStripedOpnEvPT3_j,"axG",@progbits,_Z20warp_exchange_kernelILj256ELj16ELj32E18ScatterToStripedOpnEvPT3_j,comdat
.Lfunc_end63:
	.size	_Z20warp_exchange_kernelILj256ELj16ELj32E18ScatterToStripedOpnEvPT3_j, .Lfunc_end63-_Z20warp_exchange_kernelILj256ELj16ELj32E18ScatterToStripedOpnEvPT3_j
                                        ; -- End function
	.section	.AMDGPU.csdata,"",@progbits
; Kernel info:
; codeLenInByte = 888
; NumSgprs: 10
; NumVgprs: 69
; NumAgprs: 0
; TotalNumVgprs: 69
; ScratchSize: 0
; MemoryBound: 1
; FloatMode: 240
; IeeeMode: 1
; LDSByteSize: 65536 bytes/workgroup (compile time only)
; SGPRBlocks: 1
; VGPRBlocks: 8
; NumSGPRsForWavesPerEU: 10
; NumVGPRsForWavesPerEU: 69
; AccumOffset: 72
; Occupancy: 1
; WaveLimiterHint : 1
; COMPUTE_PGM_RSRC2:SCRATCH_EN: 0
; COMPUTE_PGM_RSRC2:USER_SGPR: 2
; COMPUTE_PGM_RSRC2:TRAP_HANDLER: 0
; COMPUTE_PGM_RSRC2:TGID_X_EN: 1
; COMPUTE_PGM_RSRC2:TGID_Y_EN: 0
; COMPUTE_PGM_RSRC2:TGID_Z_EN: 0
; COMPUTE_PGM_RSRC2:TIDIG_COMP_CNT: 0
; COMPUTE_PGM_RSRC3_GFX90A:ACCUM_OFFSET: 17
; COMPUTE_PGM_RSRC3_GFX90A:TG_SPLIT: 0
	.section	.text._Z20warp_exchange_kernelILj256ELj1ELj16EN6common18BlockedToStripedOpEoEvPT3_j,"axG",@progbits,_Z20warp_exchange_kernelILj256ELj1ELj16EN6common18BlockedToStripedOpEoEvPT3_j,comdat
	.protected	_Z20warp_exchange_kernelILj256ELj1ELj16EN6common18BlockedToStripedOpEoEvPT3_j ; -- Begin function _Z20warp_exchange_kernelILj256ELj1ELj16EN6common18BlockedToStripedOpEoEvPT3_j
	.globl	_Z20warp_exchange_kernelILj256ELj1ELj16EN6common18BlockedToStripedOpEoEvPT3_j
	.p2align	8
	.type	_Z20warp_exchange_kernelILj256ELj1ELj16EN6common18BlockedToStripedOpEoEvPT3_j,@function
_Z20warp_exchange_kernelILj256ELj1ELj16EN6common18BlockedToStripedOpEoEvPT3_j: ; @_Z20warp_exchange_kernelILj256ELj1ELj16EN6common18BlockedToStripedOpEoEvPT3_j
; %bb.0:
	s_load_dword s3, s[0:1], 0x8
	v_mov_b32_e32 v1, 0
	v_mov_b64_e32 v[4:5], 0
	s_waitcnt lgkmcnt(0)
	s_cmp_eq_u32 s3, 0
	s_cbranch_scc1 .LBB64_3
; %bb.1:
	v_mbcnt_lo_u32_b32 v3, -1, 0
	v_mbcnt_hi_u32_b32 v3, -1, v3
	v_and_b32_e32 v3, 15, v3
	v_lshlrev_b32_e32 v2, 4, v0
	v_lshlrev_b32_e32 v3, 4, v3
	s_movk_i32 s4, 0xf00
	v_and_or_b32 v6, v2, s4, v3
	v_mov_b64_e32 v[2:3], v[0:1]
.LBB64_2:                               ; =>This Inner Loop Header: Depth=1
	s_waitcnt lgkmcnt(0)
	ds_write_b128 v6, v[2:5]
	; wave barrier
	ds_read_b128 v[2:5], v6
	s_add_i32 s3, s3, -1
	s_cmp_lg_u32 s3, 0
	; wave barrier
	s_cbranch_scc1 .LBB64_2
	s_branch .LBB64_4
.LBB64_3:
	v_mov_b64_e32 v[2:3], v[0:1]
.LBB64_4:
	s_load_dwordx2 s[0:1], s[0:1], 0x0
	v_lshl_or_b32 v0, s2, 8, v0
	v_mov_b32_e32 v1, 0
	s_waitcnt lgkmcnt(0)
	v_lshl_add_u64 v[0:1], v[0:1], 4, s[0:1]
	global_store_dwordx4 v[0:1], v[2:5], off
	s_endpgm
	.section	.rodata,"a",@progbits
	.p2align	6, 0x0
	.amdhsa_kernel _Z20warp_exchange_kernelILj256ELj1ELj16EN6common18BlockedToStripedOpEoEvPT3_j
		.amdhsa_group_segment_fixed_size 4096
		.amdhsa_private_segment_fixed_size 0
		.amdhsa_kernarg_size 12
		.amdhsa_user_sgpr_count 2
		.amdhsa_user_sgpr_dispatch_ptr 0
		.amdhsa_user_sgpr_queue_ptr 0
		.amdhsa_user_sgpr_kernarg_segment_ptr 1
		.amdhsa_user_sgpr_dispatch_id 0
		.amdhsa_user_sgpr_kernarg_preload_length 0
		.amdhsa_user_sgpr_kernarg_preload_offset 0
		.amdhsa_user_sgpr_private_segment_size 0
		.amdhsa_uses_dynamic_stack 0
		.amdhsa_enable_private_segment 0
		.amdhsa_system_sgpr_workgroup_id_x 1
		.amdhsa_system_sgpr_workgroup_id_y 0
		.amdhsa_system_sgpr_workgroup_id_z 0
		.amdhsa_system_sgpr_workgroup_info 0
		.amdhsa_system_vgpr_workitem_id 0
		.amdhsa_next_free_vgpr 7
		.amdhsa_next_free_sgpr 5
		.amdhsa_accum_offset 8
		.amdhsa_reserve_vcc 0
		.amdhsa_float_round_mode_32 0
		.amdhsa_float_round_mode_16_64 0
		.amdhsa_float_denorm_mode_32 3
		.amdhsa_float_denorm_mode_16_64 3
		.amdhsa_dx10_clamp 1
		.amdhsa_ieee_mode 1
		.amdhsa_fp16_overflow 0
		.amdhsa_tg_split 0
		.amdhsa_exception_fp_ieee_invalid_op 0
		.amdhsa_exception_fp_denorm_src 0
		.amdhsa_exception_fp_ieee_div_zero 0
		.amdhsa_exception_fp_ieee_overflow 0
		.amdhsa_exception_fp_ieee_underflow 0
		.amdhsa_exception_fp_ieee_inexact 0
		.amdhsa_exception_int_div_zero 0
	.end_amdhsa_kernel
	.section	.text._Z20warp_exchange_kernelILj256ELj1ELj16EN6common18BlockedToStripedOpEoEvPT3_j,"axG",@progbits,_Z20warp_exchange_kernelILj256ELj1ELj16EN6common18BlockedToStripedOpEoEvPT3_j,comdat
.Lfunc_end64:
	.size	_Z20warp_exchange_kernelILj256ELj1ELj16EN6common18BlockedToStripedOpEoEvPT3_j, .Lfunc_end64-_Z20warp_exchange_kernelILj256ELj1ELj16EN6common18BlockedToStripedOpEoEvPT3_j
                                        ; -- End function
	.section	.AMDGPU.csdata,"",@progbits
; Kernel info:
; codeLenInByte = 156
; NumSgprs: 11
; NumVgprs: 7
; NumAgprs: 0
; TotalNumVgprs: 7
; ScratchSize: 0
; MemoryBound: 0
; FloatMode: 240
; IeeeMode: 1
; LDSByteSize: 4096 bytes/workgroup (compile time only)
; SGPRBlocks: 1
; VGPRBlocks: 0
; NumSGPRsForWavesPerEU: 11
; NumVGPRsForWavesPerEU: 7
; AccumOffset: 8
; Occupancy: 8
; WaveLimiterHint : 0
; COMPUTE_PGM_RSRC2:SCRATCH_EN: 0
; COMPUTE_PGM_RSRC2:USER_SGPR: 2
; COMPUTE_PGM_RSRC2:TRAP_HANDLER: 0
; COMPUTE_PGM_RSRC2:TGID_X_EN: 1
; COMPUTE_PGM_RSRC2:TGID_Y_EN: 0
; COMPUTE_PGM_RSRC2:TGID_Z_EN: 0
; COMPUTE_PGM_RSRC2:TIDIG_COMP_CNT: 0
; COMPUTE_PGM_RSRC3_GFX90A:ACCUM_OFFSET: 1
; COMPUTE_PGM_RSRC3_GFX90A:TG_SPLIT: 0
	.section	.text._Z20warp_exchange_kernelILj256ELj1ELj32EN6common18BlockedToStripedOpEoEvPT3_j,"axG",@progbits,_Z20warp_exchange_kernelILj256ELj1ELj32EN6common18BlockedToStripedOpEoEvPT3_j,comdat
	.protected	_Z20warp_exchange_kernelILj256ELj1ELj32EN6common18BlockedToStripedOpEoEvPT3_j ; -- Begin function _Z20warp_exchange_kernelILj256ELj1ELj32EN6common18BlockedToStripedOpEoEvPT3_j
	.globl	_Z20warp_exchange_kernelILj256ELj1ELj32EN6common18BlockedToStripedOpEoEvPT3_j
	.p2align	8
	.type	_Z20warp_exchange_kernelILj256ELj1ELj32EN6common18BlockedToStripedOpEoEvPT3_j,@function
_Z20warp_exchange_kernelILj256ELj1ELj32EN6common18BlockedToStripedOpEoEvPT3_j: ; @_Z20warp_exchange_kernelILj256ELj1ELj32EN6common18BlockedToStripedOpEoEvPT3_j
; %bb.0:
	s_load_dword s3, s[0:1], 0x8
	v_mov_b32_e32 v1, 0
	v_mov_b64_e32 v[4:5], 0
	s_waitcnt lgkmcnt(0)
	s_cmp_eq_u32 s3, 0
	s_cbranch_scc1 .LBB65_3
; %bb.1:
	v_mbcnt_lo_u32_b32 v3, -1, 0
	v_mbcnt_hi_u32_b32 v3, -1, v3
	v_and_b32_e32 v3, 31, v3
	v_lshlrev_b32_e32 v2, 4, v0
	v_lshlrev_b32_e32 v3, 4, v3
	s_movk_i32 s4, 0xe00
	v_and_or_b32 v6, v2, s4, v3
	v_mov_b64_e32 v[2:3], v[0:1]
.LBB65_2:                               ; =>This Inner Loop Header: Depth=1
	s_waitcnt lgkmcnt(0)
	ds_write_b128 v6, v[2:5]
	; wave barrier
	ds_read_b128 v[2:5], v6
	s_add_i32 s3, s3, -1
	s_cmp_lg_u32 s3, 0
	; wave barrier
	s_cbranch_scc1 .LBB65_2
	s_branch .LBB65_4
.LBB65_3:
	v_mov_b64_e32 v[2:3], v[0:1]
.LBB65_4:
	s_load_dwordx2 s[0:1], s[0:1], 0x0
	v_lshl_or_b32 v0, s2, 8, v0
	v_mov_b32_e32 v1, 0
	s_waitcnt lgkmcnt(0)
	v_lshl_add_u64 v[0:1], v[0:1], 4, s[0:1]
	global_store_dwordx4 v[0:1], v[2:5], off
	s_endpgm
	.section	.rodata,"a",@progbits
	.p2align	6, 0x0
	.amdhsa_kernel _Z20warp_exchange_kernelILj256ELj1ELj32EN6common18BlockedToStripedOpEoEvPT3_j
		.amdhsa_group_segment_fixed_size 4096
		.amdhsa_private_segment_fixed_size 0
		.amdhsa_kernarg_size 12
		.amdhsa_user_sgpr_count 2
		.amdhsa_user_sgpr_dispatch_ptr 0
		.amdhsa_user_sgpr_queue_ptr 0
		.amdhsa_user_sgpr_kernarg_segment_ptr 1
		.amdhsa_user_sgpr_dispatch_id 0
		.amdhsa_user_sgpr_kernarg_preload_length 0
		.amdhsa_user_sgpr_kernarg_preload_offset 0
		.amdhsa_user_sgpr_private_segment_size 0
		.amdhsa_uses_dynamic_stack 0
		.amdhsa_enable_private_segment 0
		.amdhsa_system_sgpr_workgroup_id_x 1
		.amdhsa_system_sgpr_workgroup_id_y 0
		.amdhsa_system_sgpr_workgroup_id_z 0
		.amdhsa_system_sgpr_workgroup_info 0
		.amdhsa_system_vgpr_workitem_id 0
		.amdhsa_next_free_vgpr 7
		.amdhsa_next_free_sgpr 5
		.amdhsa_accum_offset 8
		.amdhsa_reserve_vcc 0
		.amdhsa_float_round_mode_32 0
		.amdhsa_float_round_mode_16_64 0
		.amdhsa_float_denorm_mode_32 3
		.amdhsa_float_denorm_mode_16_64 3
		.amdhsa_dx10_clamp 1
		.amdhsa_ieee_mode 1
		.amdhsa_fp16_overflow 0
		.amdhsa_tg_split 0
		.amdhsa_exception_fp_ieee_invalid_op 0
		.amdhsa_exception_fp_denorm_src 0
		.amdhsa_exception_fp_ieee_div_zero 0
		.amdhsa_exception_fp_ieee_overflow 0
		.amdhsa_exception_fp_ieee_underflow 0
		.amdhsa_exception_fp_ieee_inexact 0
		.amdhsa_exception_int_div_zero 0
	.end_amdhsa_kernel
	.section	.text._Z20warp_exchange_kernelILj256ELj1ELj32EN6common18BlockedToStripedOpEoEvPT3_j,"axG",@progbits,_Z20warp_exchange_kernelILj256ELj1ELj32EN6common18BlockedToStripedOpEoEvPT3_j,comdat
.Lfunc_end65:
	.size	_Z20warp_exchange_kernelILj256ELj1ELj32EN6common18BlockedToStripedOpEoEvPT3_j, .Lfunc_end65-_Z20warp_exchange_kernelILj256ELj1ELj32EN6common18BlockedToStripedOpEoEvPT3_j
                                        ; -- End function
	.section	.AMDGPU.csdata,"",@progbits
; Kernel info:
; codeLenInByte = 156
; NumSgprs: 11
; NumVgprs: 7
; NumAgprs: 0
; TotalNumVgprs: 7
; ScratchSize: 0
; MemoryBound: 0
; FloatMode: 240
; IeeeMode: 1
; LDSByteSize: 4096 bytes/workgroup (compile time only)
; SGPRBlocks: 1
; VGPRBlocks: 0
; NumSGPRsForWavesPerEU: 11
; NumVGPRsForWavesPerEU: 7
; AccumOffset: 8
; Occupancy: 8
; WaveLimiterHint : 0
; COMPUTE_PGM_RSRC2:SCRATCH_EN: 0
; COMPUTE_PGM_RSRC2:USER_SGPR: 2
; COMPUTE_PGM_RSRC2:TRAP_HANDLER: 0
; COMPUTE_PGM_RSRC2:TGID_X_EN: 1
; COMPUTE_PGM_RSRC2:TGID_Y_EN: 0
; COMPUTE_PGM_RSRC2:TGID_Z_EN: 0
; COMPUTE_PGM_RSRC2:TIDIG_COMP_CNT: 0
; COMPUTE_PGM_RSRC3_GFX90A:ACCUM_OFFSET: 1
; COMPUTE_PGM_RSRC3_GFX90A:TG_SPLIT: 0
	.section	.text._Z20warp_exchange_kernelILj256ELj4ELj16EN6common18BlockedToStripedOpEoEvPT3_j,"axG",@progbits,_Z20warp_exchange_kernelILj256ELj4ELj16EN6common18BlockedToStripedOpEoEvPT3_j,comdat
	.protected	_Z20warp_exchange_kernelILj256ELj4ELj16EN6common18BlockedToStripedOpEoEvPT3_j ; -- Begin function _Z20warp_exchange_kernelILj256ELj4ELj16EN6common18BlockedToStripedOpEoEvPT3_j
	.globl	_Z20warp_exchange_kernelILj256ELj4ELj16EN6common18BlockedToStripedOpEoEvPT3_j
	.p2align	8
	.type	_Z20warp_exchange_kernelILj256ELj4ELj16EN6common18BlockedToStripedOpEoEvPT3_j,@function
_Z20warp_exchange_kernelILj256ELj4ELj16EN6common18BlockedToStripedOpEoEvPT3_j: ; @_Z20warp_exchange_kernelILj256ELj4ELj16EN6common18BlockedToStripedOpEoEvPT3_j
; %bb.0:
	s_load_dword s3, s[0:1], 0x8
	v_lshlrev_b32_e32 v18, 2, v0
	v_or_b32_e32 v10, 1, v18
	v_or_b32_e32 v6, 2, v18
	;; [unrolled: 1-line block ×3, first 2 shown]
	s_waitcnt lgkmcnt(0)
	s_cmp_eq_u32 s3, 0
	s_cbranch_scc1 .LBB66_3
; %bb.1:
	v_mbcnt_lo_u32_b32 v1, -1, 0
	v_mbcnt_hi_u32_b32 v1, -1, v1
	v_and_b32_e32 v1, 15, v1
	v_mov_b32_e32 v3, 0
	v_lshlrev_b32_e32 v0, 6, v0
	v_lshlrev_b32_e32 v8, 6, v1
	s_movk_i32 s4, 0x3c00
	v_mov_b64_e32 v[4:5], 0
	v_mov_b32_e32 v19, v3
	v_and_or_b32 v0, v0, s4, v8
	v_mul_i32_i24_e32 v1, 0xffffffd0, v1
	v_mov_b64_e32 v[16:17], 0
	v_mov_b32_e32 v7, v3
	v_mov_b32_e32 v11, v3
	v_add_u32_e32 v1, v0, v1
	v_mov_b64_e32 v[8:9], v[4:5]
	v_mov_b64_e32 v[12:13], v[4:5]
	;; [unrolled: 1-line block ×3, first 2 shown]
.LBB66_2:                               ; =>This Inner Loop Header: Depth=1
	s_waitcnt lgkmcnt(3)
	ds_write_b128 v0, v[14:17]
	s_waitcnt lgkmcnt(3)
	ds_write_b128 v0, v[10:13] offset:16
	s_waitcnt lgkmcnt(3)
	ds_write_b128 v0, v[6:9] offset:32
	;; [unrolled: 2-line block ×3, first 2 shown]
	; wave barrier
	ds_read_b128 v[14:17], v1
	ds_read_b128 v[10:13], v1 offset:256
	ds_read_b128 v[6:9], v1 offset:512
	;; [unrolled: 1-line block ×3, first 2 shown]
	s_add_i32 s3, s3, -1
	s_cmp_lg_u32 s3, 0
	; wave barrier
	s_cbranch_scc1 .LBB66_2
	s_branch .LBB66_4
.LBB66_3:
	v_mov_b32_e32 v19, 0
	v_mov_b64_e32 v[16:17], 0
	v_mov_b64_e32 v[4:5], 0
	v_mov_b32_e32 v11, v19
	v_mov_b32_e32 v7, v19
	;; [unrolled: 1-line block ×3, first 2 shown]
	v_mov_b64_e32 v[14:15], v[18:19]
	v_mov_b64_e32 v[12:13], v[16:17]
	v_mov_b64_e32 v[8:9], v[16:17]
.LBB66_4:
	s_load_dwordx2 s[0:1], s[0:1], 0x0
	v_lshl_or_b32 v0, s2, 10, v18
	v_mov_b32_e32 v1, 0
	s_waitcnt lgkmcnt(0)
	v_lshl_add_u64 v[0:1], v[0:1], 4, s[0:1]
	global_store_dwordx4 v[0:1], v[14:17], off
	global_store_dwordx4 v[0:1], v[10:13], off offset:16
	global_store_dwordx4 v[0:1], v[6:9], off offset:32
	;; [unrolled: 1-line block ×3, first 2 shown]
	s_endpgm
	.section	.rodata,"a",@progbits
	.p2align	6, 0x0
	.amdhsa_kernel _Z20warp_exchange_kernelILj256ELj4ELj16EN6common18BlockedToStripedOpEoEvPT3_j
		.amdhsa_group_segment_fixed_size 16384
		.amdhsa_private_segment_fixed_size 0
		.amdhsa_kernarg_size 12
		.amdhsa_user_sgpr_count 2
		.amdhsa_user_sgpr_dispatch_ptr 0
		.amdhsa_user_sgpr_queue_ptr 0
		.amdhsa_user_sgpr_kernarg_segment_ptr 1
		.amdhsa_user_sgpr_dispatch_id 0
		.amdhsa_user_sgpr_kernarg_preload_length 0
		.amdhsa_user_sgpr_kernarg_preload_offset 0
		.amdhsa_user_sgpr_private_segment_size 0
		.amdhsa_uses_dynamic_stack 0
		.amdhsa_enable_private_segment 0
		.amdhsa_system_sgpr_workgroup_id_x 1
		.amdhsa_system_sgpr_workgroup_id_y 0
		.amdhsa_system_sgpr_workgroup_id_z 0
		.amdhsa_system_sgpr_workgroup_info 0
		.amdhsa_system_vgpr_workitem_id 0
		.amdhsa_next_free_vgpr 20
		.amdhsa_next_free_sgpr 5
		.amdhsa_accum_offset 20
		.amdhsa_reserve_vcc 0
		.amdhsa_float_round_mode_32 0
		.amdhsa_float_round_mode_16_64 0
		.amdhsa_float_denorm_mode_32 3
		.amdhsa_float_denorm_mode_16_64 3
		.amdhsa_dx10_clamp 1
		.amdhsa_ieee_mode 1
		.amdhsa_fp16_overflow 0
		.amdhsa_tg_split 0
		.amdhsa_exception_fp_ieee_invalid_op 0
		.amdhsa_exception_fp_denorm_src 0
		.amdhsa_exception_fp_ieee_div_zero 0
		.amdhsa_exception_fp_ieee_overflow 0
		.amdhsa_exception_fp_ieee_underflow 0
		.amdhsa_exception_fp_ieee_inexact 0
		.amdhsa_exception_int_div_zero 0
	.end_amdhsa_kernel
	.section	.text._Z20warp_exchange_kernelILj256ELj4ELj16EN6common18BlockedToStripedOpEoEvPT3_j,"axG",@progbits,_Z20warp_exchange_kernelILj256ELj4ELj16EN6common18BlockedToStripedOpEoEvPT3_j,comdat
.Lfunc_end66:
	.size	_Z20warp_exchange_kernelILj256ELj4ELj16EN6common18BlockedToStripedOpEoEvPT3_j, .Lfunc_end66-_Z20warp_exchange_kernelILj256ELj4ELj16EN6common18BlockedToStripedOpEoEvPT3_j
                                        ; -- End function
	.section	.AMDGPU.csdata,"",@progbits
; Kernel info:
; codeLenInByte = 324
; NumSgprs: 11
; NumVgprs: 20
; NumAgprs: 0
; TotalNumVgprs: 20
; ScratchSize: 0
; MemoryBound: 0
; FloatMode: 240
; IeeeMode: 1
; LDSByteSize: 16384 bytes/workgroup (compile time only)
; SGPRBlocks: 1
; VGPRBlocks: 2
; NumSGPRsForWavesPerEU: 11
; NumVGPRsForWavesPerEU: 20
; AccumOffset: 20
; Occupancy: 4
; WaveLimiterHint : 0
; COMPUTE_PGM_RSRC2:SCRATCH_EN: 0
; COMPUTE_PGM_RSRC2:USER_SGPR: 2
; COMPUTE_PGM_RSRC2:TRAP_HANDLER: 0
; COMPUTE_PGM_RSRC2:TGID_X_EN: 1
; COMPUTE_PGM_RSRC2:TGID_Y_EN: 0
; COMPUTE_PGM_RSRC2:TGID_Z_EN: 0
; COMPUTE_PGM_RSRC2:TIDIG_COMP_CNT: 0
; COMPUTE_PGM_RSRC3_GFX90A:ACCUM_OFFSET: 4
; COMPUTE_PGM_RSRC3_GFX90A:TG_SPLIT: 0
	.section	.text._Z20warp_exchange_kernelILj256ELj4ELj32EN6common18BlockedToStripedOpEoEvPT3_j,"axG",@progbits,_Z20warp_exchange_kernelILj256ELj4ELj32EN6common18BlockedToStripedOpEoEvPT3_j,comdat
	.protected	_Z20warp_exchange_kernelILj256ELj4ELj32EN6common18BlockedToStripedOpEoEvPT3_j ; -- Begin function _Z20warp_exchange_kernelILj256ELj4ELj32EN6common18BlockedToStripedOpEoEvPT3_j
	.globl	_Z20warp_exchange_kernelILj256ELj4ELj32EN6common18BlockedToStripedOpEoEvPT3_j
	.p2align	8
	.type	_Z20warp_exchange_kernelILj256ELj4ELj32EN6common18BlockedToStripedOpEoEvPT3_j,@function
_Z20warp_exchange_kernelILj256ELj4ELj32EN6common18BlockedToStripedOpEoEvPT3_j: ; @_Z20warp_exchange_kernelILj256ELj4ELj32EN6common18BlockedToStripedOpEoEvPT3_j
; %bb.0:
	s_load_dword s3, s[0:1], 0x8
	v_lshlrev_b32_e32 v18, 2, v0
	v_or_b32_e32 v10, 1, v18
	v_or_b32_e32 v6, 2, v18
	;; [unrolled: 1-line block ×3, first 2 shown]
	s_waitcnt lgkmcnt(0)
	s_cmp_eq_u32 s3, 0
	s_cbranch_scc1 .LBB67_3
; %bb.1:
	v_mbcnt_lo_u32_b32 v1, -1, 0
	v_mbcnt_hi_u32_b32 v1, -1, v1
	v_and_b32_e32 v1, 31, v1
	v_mov_b32_e32 v3, 0
	v_lshlrev_b32_e32 v0, 6, v0
	v_lshlrev_b32_e32 v8, 6, v1
	s_movk_i32 s4, 0x3800
	v_mov_b64_e32 v[4:5], 0
	v_mov_b32_e32 v19, v3
	v_and_or_b32 v0, v0, s4, v8
	v_mul_i32_i24_e32 v1, 0xffffffd0, v1
	v_mov_b64_e32 v[16:17], 0
	v_mov_b32_e32 v7, v3
	v_mov_b32_e32 v11, v3
	v_add_u32_e32 v1, v0, v1
	v_mov_b64_e32 v[8:9], v[4:5]
	v_mov_b64_e32 v[12:13], v[4:5]
	;; [unrolled: 1-line block ×3, first 2 shown]
.LBB67_2:                               ; =>This Inner Loop Header: Depth=1
	s_waitcnt lgkmcnt(3)
	ds_write_b128 v0, v[14:17]
	s_waitcnt lgkmcnt(3)
	ds_write_b128 v0, v[10:13] offset:16
	s_waitcnt lgkmcnt(3)
	ds_write_b128 v0, v[6:9] offset:32
	;; [unrolled: 2-line block ×3, first 2 shown]
	; wave barrier
	ds_read_b128 v[14:17], v1
	ds_read_b128 v[10:13], v1 offset:512
	ds_read_b128 v[6:9], v1 offset:1024
	;; [unrolled: 1-line block ×3, first 2 shown]
	s_add_i32 s3, s3, -1
	s_cmp_lg_u32 s3, 0
	; wave barrier
	s_cbranch_scc1 .LBB67_2
	s_branch .LBB67_4
.LBB67_3:
	v_mov_b32_e32 v19, 0
	v_mov_b64_e32 v[16:17], 0
	v_mov_b64_e32 v[4:5], 0
	v_mov_b32_e32 v11, v19
	v_mov_b32_e32 v7, v19
	;; [unrolled: 1-line block ×3, first 2 shown]
	v_mov_b64_e32 v[14:15], v[18:19]
	v_mov_b64_e32 v[12:13], v[16:17]
	;; [unrolled: 1-line block ×3, first 2 shown]
.LBB67_4:
	s_load_dwordx2 s[0:1], s[0:1], 0x0
	v_lshl_or_b32 v0, s2, 10, v18
	v_mov_b32_e32 v1, 0
	s_waitcnt lgkmcnt(0)
	v_lshl_add_u64 v[0:1], v[0:1], 4, s[0:1]
	global_store_dwordx4 v[0:1], v[14:17], off
	global_store_dwordx4 v[0:1], v[10:13], off offset:16
	global_store_dwordx4 v[0:1], v[6:9], off offset:32
	;; [unrolled: 1-line block ×3, first 2 shown]
	s_endpgm
	.section	.rodata,"a",@progbits
	.p2align	6, 0x0
	.amdhsa_kernel _Z20warp_exchange_kernelILj256ELj4ELj32EN6common18BlockedToStripedOpEoEvPT3_j
		.amdhsa_group_segment_fixed_size 16384
		.amdhsa_private_segment_fixed_size 0
		.amdhsa_kernarg_size 12
		.amdhsa_user_sgpr_count 2
		.amdhsa_user_sgpr_dispatch_ptr 0
		.amdhsa_user_sgpr_queue_ptr 0
		.amdhsa_user_sgpr_kernarg_segment_ptr 1
		.amdhsa_user_sgpr_dispatch_id 0
		.amdhsa_user_sgpr_kernarg_preload_length 0
		.amdhsa_user_sgpr_kernarg_preload_offset 0
		.amdhsa_user_sgpr_private_segment_size 0
		.amdhsa_uses_dynamic_stack 0
		.amdhsa_enable_private_segment 0
		.amdhsa_system_sgpr_workgroup_id_x 1
		.amdhsa_system_sgpr_workgroup_id_y 0
		.amdhsa_system_sgpr_workgroup_id_z 0
		.amdhsa_system_sgpr_workgroup_info 0
		.amdhsa_system_vgpr_workitem_id 0
		.amdhsa_next_free_vgpr 20
		.amdhsa_next_free_sgpr 5
		.amdhsa_accum_offset 20
		.amdhsa_reserve_vcc 0
		.amdhsa_float_round_mode_32 0
		.amdhsa_float_round_mode_16_64 0
		.amdhsa_float_denorm_mode_32 3
		.amdhsa_float_denorm_mode_16_64 3
		.amdhsa_dx10_clamp 1
		.amdhsa_ieee_mode 1
		.amdhsa_fp16_overflow 0
		.amdhsa_tg_split 0
		.amdhsa_exception_fp_ieee_invalid_op 0
		.amdhsa_exception_fp_denorm_src 0
		.amdhsa_exception_fp_ieee_div_zero 0
		.amdhsa_exception_fp_ieee_overflow 0
		.amdhsa_exception_fp_ieee_underflow 0
		.amdhsa_exception_fp_ieee_inexact 0
		.amdhsa_exception_int_div_zero 0
	.end_amdhsa_kernel
	.section	.text._Z20warp_exchange_kernelILj256ELj4ELj32EN6common18BlockedToStripedOpEoEvPT3_j,"axG",@progbits,_Z20warp_exchange_kernelILj256ELj4ELj32EN6common18BlockedToStripedOpEoEvPT3_j,comdat
.Lfunc_end67:
	.size	_Z20warp_exchange_kernelILj256ELj4ELj32EN6common18BlockedToStripedOpEoEvPT3_j, .Lfunc_end67-_Z20warp_exchange_kernelILj256ELj4ELj32EN6common18BlockedToStripedOpEoEvPT3_j
                                        ; -- End function
	.section	.AMDGPU.csdata,"",@progbits
; Kernel info:
; codeLenInByte = 324
; NumSgprs: 11
; NumVgprs: 20
; NumAgprs: 0
; TotalNumVgprs: 20
; ScratchSize: 0
; MemoryBound: 0
; FloatMode: 240
; IeeeMode: 1
; LDSByteSize: 16384 bytes/workgroup (compile time only)
; SGPRBlocks: 1
; VGPRBlocks: 2
; NumSGPRsForWavesPerEU: 11
; NumVGPRsForWavesPerEU: 20
; AccumOffset: 20
; Occupancy: 4
; WaveLimiterHint : 0
; COMPUTE_PGM_RSRC2:SCRATCH_EN: 0
; COMPUTE_PGM_RSRC2:USER_SGPR: 2
; COMPUTE_PGM_RSRC2:TRAP_HANDLER: 0
; COMPUTE_PGM_RSRC2:TGID_X_EN: 1
; COMPUTE_PGM_RSRC2:TGID_Y_EN: 0
; COMPUTE_PGM_RSRC2:TGID_Z_EN: 0
; COMPUTE_PGM_RSRC2:TIDIG_COMP_CNT: 0
; COMPUTE_PGM_RSRC3_GFX90A:ACCUM_OFFSET: 4
; COMPUTE_PGM_RSRC3_GFX90A:TG_SPLIT: 0
	.section	.text._Z20warp_exchange_kernelILj256ELj16ELj16EN6common18BlockedToStripedOpEoEvPT3_j,"axG",@progbits,_Z20warp_exchange_kernelILj256ELj16ELj16EN6common18BlockedToStripedOpEoEvPT3_j,comdat
	.protected	_Z20warp_exchange_kernelILj256ELj16ELj16EN6common18BlockedToStripedOpEoEvPT3_j ; -- Begin function _Z20warp_exchange_kernelILj256ELj16ELj16EN6common18BlockedToStripedOpEoEvPT3_j
	.globl	_Z20warp_exchange_kernelILj256ELj16ELj16EN6common18BlockedToStripedOpEoEvPT3_j
	.p2align	8
	.type	_Z20warp_exchange_kernelILj256ELj16ELj16EN6common18BlockedToStripedOpEoEvPT3_j,@function
_Z20warp_exchange_kernelILj256ELj16ELj16EN6common18BlockedToStripedOpEoEvPT3_j: ; @_Z20warp_exchange_kernelILj256ELj16ELj16EN6common18BlockedToStripedOpEoEvPT3_j
; %bb.0:
	s_load_dword s3, s[0:1], 0x8
	v_lshlrev_b32_e32 v66, 4, v0
	v_or_b32_e32 v58, 1, v66
	v_or_b32_e32 v54, 2, v66
	;; [unrolled: 1-line block ×14, first 2 shown]
	s_waitcnt lgkmcnt(0)
	s_cmp_eq_u32 s3, 0
	v_or_b32_e32 v2, 15, v66
	s_cbranch_scc1 .LBB68_3
; %bb.1:
	v_mbcnt_lo_u32_b32 v1, -1, 0
	v_mbcnt_hi_u32_b32 v1, -1, v1
	v_and_b32_e32 v1, 15, v1
	v_mov_b32_e32 v3, 0
	v_lshlrev_b32_e32 v0, 8, v0
	v_lshlrev_b32_e32 v8, 8, v1
	s_mov_b32 s4, 0xf000
	v_mov_b64_e32 v[4:5], 0
	v_mov_b32_e32 v67, v3
	v_and_or_b32 v0, v0, s4, v8
	v_mul_i32_i24_e32 v1, 0xffffff10, v1
	v_mov_b64_e32 v[64:65], 0
	v_mov_b32_e32 v7, v3
	v_mov_b32_e32 v11, v3
	;; [unrolled: 1-line block ×14, first 2 shown]
	v_add_u32_e32 v1, v0, v1
	v_mov_b64_e32 v[8:9], v[4:5]
	v_mov_b64_e32 v[12:13], v[4:5]
	;; [unrolled: 1-line block ×15, first 2 shown]
.LBB68_2:                               ; =>This Inner Loop Header: Depth=1
	s_waitcnt lgkmcnt(14)
	ds_write_b128 v0, v[62:65]
	ds_write_b128 v0, v[58:61] offset:16
	s_waitcnt lgkmcnt(14)
	ds_write_b128 v0, v[54:57] offset:32
	ds_write_b128 v0, v[50:53] offset:48
	s_waitcnt lgkmcnt(14)
	ds_write_b128 v0, v[46:49] offset:64
	;; [unrolled: 3-line block ×7, first 2 shown]
	ds_write_b128 v0, v[2:5] offset:240
	; wave barrier
	ds_read_b128 v[62:65], v1
	ds_read_b128 v[58:61], v1 offset:256
	ds_read_b128 v[54:57], v1 offset:512
	;; [unrolled: 1-line block ×15, first 2 shown]
	s_add_i32 s3, s3, -1
	s_cmp_lg_u32 s3, 0
	; wave barrier
	s_cbranch_scc1 .LBB68_2
	s_branch .LBB68_4
.LBB68_3:
	v_mov_b32_e32 v67, 0
	v_mov_b64_e32 v[64:65], 0
	v_mov_b64_e32 v[4:5], 0
	v_mov_b32_e32 v59, v67
	v_mov_b32_e32 v55, v67
	;; [unrolled: 1-line block ×15, first 2 shown]
	v_mov_b64_e32 v[62:63], v[66:67]
	v_mov_b64_e32 v[60:61], v[64:65]
	;; [unrolled: 1-line block ×15, first 2 shown]
.LBB68_4:
	s_load_dwordx2 s[0:1], s[0:1], 0x0
	v_lshl_or_b32 v0, s2, 12, v66
	v_mov_b32_e32 v1, 0
	s_waitcnt lgkmcnt(0)
	v_lshl_add_u64 v[0:1], v[0:1], 4, s[0:1]
	global_store_dwordx4 v[0:1], v[62:65], off
	global_store_dwordx4 v[0:1], v[58:61], off offset:16
	global_store_dwordx4 v[0:1], v[54:57], off offset:32
	;; [unrolled: 1-line block ×15, first 2 shown]
	s_endpgm
	.section	.rodata,"a",@progbits
	.p2align	6, 0x0
	.amdhsa_kernel _Z20warp_exchange_kernelILj256ELj16ELj16EN6common18BlockedToStripedOpEoEvPT3_j
		.amdhsa_group_segment_fixed_size 65536
		.amdhsa_private_segment_fixed_size 0
		.amdhsa_kernarg_size 12
		.amdhsa_user_sgpr_count 2
		.amdhsa_user_sgpr_dispatch_ptr 0
		.amdhsa_user_sgpr_queue_ptr 0
		.amdhsa_user_sgpr_kernarg_segment_ptr 1
		.amdhsa_user_sgpr_dispatch_id 0
		.amdhsa_user_sgpr_kernarg_preload_length 0
		.amdhsa_user_sgpr_kernarg_preload_offset 0
		.amdhsa_user_sgpr_private_segment_size 0
		.amdhsa_uses_dynamic_stack 0
		.amdhsa_enable_private_segment 0
		.amdhsa_system_sgpr_workgroup_id_x 1
		.amdhsa_system_sgpr_workgroup_id_y 0
		.amdhsa_system_sgpr_workgroup_id_z 0
		.amdhsa_system_sgpr_workgroup_info 0
		.amdhsa_system_vgpr_workitem_id 0
		.amdhsa_next_free_vgpr 68
		.amdhsa_next_free_sgpr 5
		.amdhsa_accum_offset 68
		.amdhsa_reserve_vcc 0
		.amdhsa_float_round_mode_32 0
		.amdhsa_float_round_mode_16_64 0
		.amdhsa_float_denorm_mode_32 3
		.amdhsa_float_denorm_mode_16_64 3
		.amdhsa_dx10_clamp 1
		.amdhsa_ieee_mode 1
		.amdhsa_fp16_overflow 0
		.amdhsa_tg_split 0
		.amdhsa_exception_fp_ieee_invalid_op 0
		.amdhsa_exception_fp_denorm_src 0
		.amdhsa_exception_fp_ieee_div_zero 0
		.amdhsa_exception_fp_ieee_overflow 0
		.amdhsa_exception_fp_ieee_underflow 0
		.amdhsa_exception_fp_ieee_inexact 0
		.amdhsa_exception_int_div_zero 0
	.end_amdhsa_kernel
	.section	.text._Z20warp_exchange_kernelILj256ELj16ELj16EN6common18BlockedToStripedOpEoEvPT3_j,"axG",@progbits,_Z20warp_exchange_kernelILj256ELj16ELj16EN6common18BlockedToStripedOpEoEvPT3_j,comdat
.Lfunc_end68:
	.size	_Z20warp_exchange_kernelILj256ELj16ELj16EN6common18BlockedToStripedOpEoEvPT3_j, .Lfunc_end68-_Z20warp_exchange_kernelILj256ELj16ELj16EN6common18BlockedToStripedOpEoEvPT3_j
                                        ; -- End function
	.section	.AMDGPU.csdata,"",@progbits
; Kernel info:
; codeLenInByte = 872
; NumSgprs: 11
; NumVgprs: 68
; NumAgprs: 0
; TotalNumVgprs: 68
; ScratchSize: 0
; MemoryBound: 1
; FloatMode: 240
; IeeeMode: 1
; LDSByteSize: 65536 bytes/workgroup (compile time only)
; SGPRBlocks: 1
; VGPRBlocks: 8
; NumSGPRsForWavesPerEU: 11
; NumVGPRsForWavesPerEU: 68
; AccumOffset: 68
; Occupancy: 1
; WaveLimiterHint : 1
; COMPUTE_PGM_RSRC2:SCRATCH_EN: 0
; COMPUTE_PGM_RSRC2:USER_SGPR: 2
; COMPUTE_PGM_RSRC2:TRAP_HANDLER: 0
; COMPUTE_PGM_RSRC2:TGID_X_EN: 1
; COMPUTE_PGM_RSRC2:TGID_Y_EN: 0
; COMPUTE_PGM_RSRC2:TGID_Z_EN: 0
; COMPUTE_PGM_RSRC2:TIDIG_COMP_CNT: 0
; COMPUTE_PGM_RSRC3_GFX90A:ACCUM_OFFSET: 16
; COMPUTE_PGM_RSRC3_GFX90A:TG_SPLIT: 0
	.section	.text._Z20warp_exchange_kernelILj256ELj16ELj32EN6common18BlockedToStripedOpEoEvPT3_j,"axG",@progbits,_Z20warp_exchange_kernelILj256ELj16ELj32EN6common18BlockedToStripedOpEoEvPT3_j,comdat
	.protected	_Z20warp_exchange_kernelILj256ELj16ELj32EN6common18BlockedToStripedOpEoEvPT3_j ; -- Begin function _Z20warp_exchange_kernelILj256ELj16ELj32EN6common18BlockedToStripedOpEoEvPT3_j
	.globl	_Z20warp_exchange_kernelILj256ELj16ELj32EN6common18BlockedToStripedOpEoEvPT3_j
	.p2align	8
	.type	_Z20warp_exchange_kernelILj256ELj16ELj32EN6common18BlockedToStripedOpEoEvPT3_j,@function
_Z20warp_exchange_kernelILj256ELj16ELj32EN6common18BlockedToStripedOpEoEvPT3_j: ; @_Z20warp_exchange_kernelILj256ELj16ELj32EN6common18BlockedToStripedOpEoEvPT3_j
; %bb.0:
	s_load_dword s3, s[0:1], 0x8
	v_lshlrev_b32_e32 v66, 4, v0
	v_or_b32_e32 v58, 1, v66
	v_or_b32_e32 v54, 2, v66
	;; [unrolled: 1-line block ×14, first 2 shown]
	s_waitcnt lgkmcnt(0)
	s_cmp_eq_u32 s3, 0
	v_or_b32_e32 v2, 15, v66
	s_cbranch_scc1 .LBB69_3
; %bb.1:
	v_mbcnt_lo_u32_b32 v1, -1, 0
	v_mbcnt_hi_u32_b32 v1, -1, v1
	v_and_b32_e32 v1, 31, v1
	v_mov_b32_e32 v3, 0
	v_lshlrev_b32_e32 v0, 8, v0
	v_lshlrev_b32_e32 v8, 8, v1
	s_mov_b32 s4, 0xe000
	v_mov_b64_e32 v[4:5], 0
	v_mov_b32_e32 v67, v3
	v_and_or_b32 v0, v0, s4, v8
	v_mul_i32_i24_e32 v1, 0xffffff10, v1
	v_mov_b64_e32 v[64:65], 0
	v_mov_b32_e32 v7, v3
	v_mov_b32_e32 v11, v3
	;; [unrolled: 1-line block ×14, first 2 shown]
	v_add_u32_e32 v1, v0, v1
	v_mov_b64_e32 v[8:9], v[4:5]
	v_mov_b64_e32 v[12:13], v[4:5]
	v_mov_b64_e32 v[16:17], v[4:5]
	v_mov_b64_e32 v[20:21], v[4:5]
	v_mov_b64_e32 v[24:25], v[4:5]
	v_mov_b64_e32 v[28:29], v[4:5]
	v_mov_b64_e32 v[32:33], v[4:5]
	v_mov_b64_e32 v[36:37], v[4:5]
	v_mov_b64_e32 v[40:41], v[4:5]
	v_mov_b64_e32 v[44:45], v[4:5]
	v_mov_b64_e32 v[48:49], v[4:5]
	v_mov_b64_e32 v[52:53], v[4:5]
	v_mov_b64_e32 v[56:57], v[4:5]
	v_mov_b64_e32 v[60:61], v[4:5]
	v_mov_b64_e32 v[62:63], v[66:67]
.LBB69_2:                               ; =>This Inner Loop Header: Depth=1
	s_waitcnt lgkmcnt(14)
	ds_write_b128 v0, v[62:65]
	ds_write_b128 v0, v[58:61] offset:16
	s_waitcnt lgkmcnt(14)
	ds_write_b128 v0, v[54:57] offset:32
	ds_write_b128 v0, v[50:53] offset:48
	s_waitcnt lgkmcnt(14)
	ds_write_b128 v0, v[46:49] offset:64
	;; [unrolled: 3-line block ×7, first 2 shown]
	ds_write_b128 v0, v[2:5] offset:240
	; wave barrier
	ds_read_b128 v[62:65], v1
	ds_read_b128 v[58:61], v1 offset:512
	ds_read_b128 v[54:57], v1 offset:1024
	;; [unrolled: 1-line block ×15, first 2 shown]
	s_add_i32 s3, s3, -1
	s_cmp_lg_u32 s3, 0
	; wave barrier
	s_cbranch_scc1 .LBB69_2
	s_branch .LBB69_4
.LBB69_3:
	v_mov_b32_e32 v67, 0
	v_mov_b64_e32 v[64:65], 0
	v_mov_b64_e32 v[4:5], 0
	v_mov_b32_e32 v59, v67
	v_mov_b32_e32 v55, v67
	;; [unrolled: 1-line block ×15, first 2 shown]
	v_mov_b64_e32 v[62:63], v[66:67]
	v_mov_b64_e32 v[60:61], v[64:65]
	;; [unrolled: 1-line block ×15, first 2 shown]
.LBB69_4:
	s_load_dwordx2 s[0:1], s[0:1], 0x0
	v_lshl_or_b32 v0, s2, 12, v66
	v_mov_b32_e32 v1, 0
	s_waitcnt lgkmcnt(0)
	v_lshl_add_u64 v[0:1], v[0:1], 4, s[0:1]
	global_store_dwordx4 v[0:1], v[62:65], off
	global_store_dwordx4 v[0:1], v[58:61], off offset:16
	global_store_dwordx4 v[0:1], v[54:57], off offset:32
	;; [unrolled: 1-line block ×15, first 2 shown]
	s_endpgm
	.section	.rodata,"a",@progbits
	.p2align	6, 0x0
	.amdhsa_kernel _Z20warp_exchange_kernelILj256ELj16ELj32EN6common18BlockedToStripedOpEoEvPT3_j
		.amdhsa_group_segment_fixed_size 65536
		.amdhsa_private_segment_fixed_size 0
		.amdhsa_kernarg_size 12
		.amdhsa_user_sgpr_count 2
		.amdhsa_user_sgpr_dispatch_ptr 0
		.amdhsa_user_sgpr_queue_ptr 0
		.amdhsa_user_sgpr_kernarg_segment_ptr 1
		.amdhsa_user_sgpr_dispatch_id 0
		.amdhsa_user_sgpr_kernarg_preload_length 0
		.amdhsa_user_sgpr_kernarg_preload_offset 0
		.amdhsa_user_sgpr_private_segment_size 0
		.amdhsa_uses_dynamic_stack 0
		.amdhsa_enable_private_segment 0
		.amdhsa_system_sgpr_workgroup_id_x 1
		.amdhsa_system_sgpr_workgroup_id_y 0
		.amdhsa_system_sgpr_workgroup_id_z 0
		.amdhsa_system_sgpr_workgroup_info 0
		.amdhsa_system_vgpr_workitem_id 0
		.amdhsa_next_free_vgpr 68
		.amdhsa_next_free_sgpr 5
		.amdhsa_accum_offset 68
		.amdhsa_reserve_vcc 0
		.amdhsa_float_round_mode_32 0
		.amdhsa_float_round_mode_16_64 0
		.amdhsa_float_denorm_mode_32 3
		.amdhsa_float_denorm_mode_16_64 3
		.amdhsa_dx10_clamp 1
		.amdhsa_ieee_mode 1
		.amdhsa_fp16_overflow 0
		.amdhsa_tg_split 0
		.amdhsa_exception_fp_ieee_invalid_op 0
		.amdhsa_exception_fp_denorm_src 0
		.amdhsa_exception_fp_ieee_div_zero 0
		.amdhsa_exception_fp_ieee_overflow 0
		.amdhsa_exception_fp_ieee_underflow 0
		.amdhsa_exception_fp_ieee_inexact 0
		.amdhsa_exception_int_div_zero 0
	.end_amdhsa_kernel
	.section	.text._Z20warp_exchange_kernelILj256ELj16ELj32EN6common18BlockedToStripedOpEoEvPT3_j,"axG",@progbits,_Z20warp_exchange_kernelILj256ELj16ELj32EN6common18BlockedToStripedOpEoEvPT3_j,comdat
.Lfunc_end69:
	.size	_Z20warp_exchange_kernelILj256ELj16ELj32EN6common18BlockedToStripedOpEoEvPT3_j, .Lfunc_end69-_Z20warp_exchange_kernelILj256ELj16ELj32EN6common18BlockedToStripedOpEoEvPT3_j
                                        ; -- End function
	.section	.AMDGPU.csdata,"",@progbits
; Kernel info:
; codeLenInByte = 872
; NumSgprs: 11
; NumVgprs: 68
; NumAgprs: 0
; TotalNumVgprs: 68
; ScratchSize: 0
; MemoryBound: 1
; FloatMode: 240
; IeeeMode: 1
; LDSByteSize: 65536 bytes/workgroup (compile time only)
; SGPRBlocks: 1
; VGPRBlocks: 8
; NumSGPRsForWavesPerEU: 11
; NumVGPRsForWavesPerEU: 68
; AccumOffset: 68
; Occupancy: 1
; WaveLimiterHint : 1
; COMPUTE_PGM_RSRC2:SCRATCH_EN: 0
; COMPUTE_PGM_RSRC2:USER_SGPR: 2
; COMPUTE_PGM_RSRC2:TRAP_HANDLER: 0
; COMPUTE_PGM_RSRC2:TGID_X_EN: 1
; COMPUTE_PGM_RSRC2:TGID_Y_EN: 0
; COMPUTE_PGM_RSRC2:TGID_Z_EN: 0
; COMPUTE_PGM_RSRC2:TIDIG_COMP_CNT: 0
; COMPUTE_PGM_RSRC3_GFX90A:ACCUM_OFFSET: 16
; COMPUTE_PGM_RSRC3_GFX90A:TG_SPLIT: 0
	.section	.text._Z20warp_exchange_kernelILj256ELj1ELj16EN6common18StripedToBlockedOpEoEvPT3_j,"axG",@progbits,_Z20warp_exchange_kernelILj256ELj1ELj16EN6common18StripedToBlockedOpEoEvPT3_j,comdat
	.protected	_Z20warp_exchange_kernelILj256ELj1ELj16EN6common18StripedToBlockedOpEoEvPT3_j ; -- Begin function _Z20warp_exchange_kernelILj256ELj1ELj16EN6common18StripedToBlockedOpEoEvPT3_j
	.globl	_Z20warp_exchange_kernelILj256ELj1ELj16EN6common18StripedToBlockedOpEoEvPT3_j
	.p2align	8
	.type	_Z20warp_exchange_kernelILj256ELj1ELj16EN6common18StripedToBlockedOpEoEvPT3_j,@function
_Z20warp_exchange_kernelILj256ELj1ELj16EN6common18StripedToBlockedOpEoEvPT3_j: ; @_Z20warp_exchange_kernelILj256ELj1ELj16EN6common18StripedToBlockedOpEoEvPT3_j
; %bb.0:
	s_load_dword s3, s[0:1], 0x8
	v_mov_b32_e32 v1, 0
	v_mov_b64_e32 v[4:5], 0
	s_waitcnt lgkmcnt(0)
	s_cmp_eq_u32 s3, 0
	s_cbranch_scc1 .LBB70_3
; %bb.1:
	v_mbcnt_lo_u32_b32 v3, -1, 0
	v_mbcnt_hi_u32_b32 v3, -1, v3
	v_and_b32_e32 v3, 15, v3
	v_lshlrev_b32_e32 v2, 4, v0
	v_lshlrev_b32_e32 v3, 4, v3
	s_movk_i32 s4, 0xf00
	v_and_or_b32 v6, v2, s4, v3
	v_mov_b64_e32 v[2:3], v[0:1]
.LBB70_2:                               ; =>This Inner Loop Header: Depth=1
	s_waitcnt lgkmcnt(0)
	ds_write_b128 v6, v[2:5]
	; wave barrier
	ds_read_b128 v[2:5], v6
	s_add_i32 s3, s3, -1
	s_cmp_lg_u32 s3, 0
	; wave barrier
	s_cbranch_scc1 .LBB70_2
	s_branch .LBB70_4
.LBB70_3:
	v_mov_b64_e32 v[2:3], v[0:1]
.LBB70_4:
	s_load_dwordx2 s[0:1], s[0:1], 0x0
	v_lshl_or_b32 v0, s2, 8, v0
	v_mov_b32_e32 v1, 0
	s_waitcnt lgkmcnt(0)
	v_lshl_add_u64 v[0:1], v[0:1], 4, s[0:1]
	global_store_dwordx4 v[0:1], v[2:5], off
	s_endpgm
	.section	.rodata,"a",@progbits
	.p2align	6, 0x0
	.amdhsa_kernel _Z20warp_exchange_kernelILj256ELj1ELj16EN6common18StripedToBlockedOpEoEvPT3_j
		.amdhsa_group_segment_fixed_size 4096
		.amdhsa_private_segment_fixed_size 0
		.amdhsa_kernarg_size 12
		.amdhsa_user_sgpr_count 2
		.amdhsa_user_sgpr_dispatch_ptr 0
		.amdhsa_user_sgpr_queue_ptr 0
		.amdhsa_user_sgpr_kernarg_segment_ptr 1
		.amdhsa_user_sgpr_dispatch_id 0
		.amdhsa_user_sgpr_kernarg_preload_length 0
		.amdhsa_user_sgpr_kernarg_preload_offset 0
		.amdhsa_user_sgpr_private_segment_size 0
		.amdhsa_uses_dynamic_stack 0
		.amdhsa_enable_private_segment 0
		.amdhsa_system_sgpr_workgroup_id_x 1
		.amdhsa_system_sgpr_workgroup_id_y 0
		.amdhsa_system_sgpr_workgroup_id_z 0
		.amdhsa_system_sgpr_workgroup_info 0
		.amdhsa_system_vgpr_workitem_id 0
		.amdhsa_next_free_vgpr 7
		.amdhsa_next_free_sgpr 5
		.amdhsa_accum_offset 8
		.amdhsa_reserve_vcc 0
		.amdhsa_float_round_mode_32 0
		.amdhsa_float_round_mode_16_64 0
		.amdhsa_float_denorm_mode_32 3
		.amdhsa_float_denorm_mode_16_64 3
		.amdhsa_dx10_clamp 1
		.amdhsa_ieee_mode 1
		.amdhsa_fp16_overflow 0
		.amdhsa_tg_split 0
		.amdhsa_exception_fp_ieee_invalid_op 0
		.amdhsa_exception_fp_denorm_src 0
		.amdhsa_exception_fp_ieee_div_zero 0
		.amdhsa_exception_fp_ieee_overflow 0
		.amdhsa_exception_fp_ieee_underflow 0
		.amdhsa_exception_fp_ieee_inexact 0
		.amdhsa_exception_int_div_zero 0
	.end_amdhsa_kernel
	.section	.text._Z20warp_exchange_kernelILj256ELj1ELj16EN6common18StripedToBlockedOpEoEvPT3_j,"axG",@progbits,_Z20warp_exchange_kernelILj256ELj1ELj16EN6common18StripedToBlockedOpEoEvPT3_j,comdat
.Lfunc_end70:
	.size	_Z20warp_exchange_kernelILj256ELj1ELj16EN6common18StripedToBlockedOpEoEvPT3_j, .Lfunc_end70-_Z20warp_exchange_kernelILj256ELj1ELj16EN6common18StripedToBlockedOpEoEvPT3_j
                                        ; -- End function
	.section	.AMDGPU.csdata,"",@progbits
; Kernel info:
; codeLenInByte = 156
; NumSgprs: 11
; NumVgprs: 7
; NumAgprs: 0
; TotalNumVgprs: 7
; ScratchSize: 0
; MemoryBound: 0
; FloatMode: 240
; IeeeMode: 1
; LDSByteSize: 4096 bytes/workgroup (compile time only)
; SGPRBlocks: 1
; VGPRBlocks: 0
; NumSGPRsForWavesPerEU: 11
; NumVGPRsForWavesPerEU: 7
; AccumOffset: 8
; Occupancy: 8
; WaveLimiterHint : 0
; COMPUTE_PGM_RSRC2:SCRATCH_EN: 0
; COMPUTE_PGM_RSRC2:USER_SGPR: 2
; COMPUTE_PGM_RSRC2:TRAP_HANDLER: 0
; COMPUTE_PGM_RSRC2:TGID_X_EN: 1
; COMPUTE_PGM_RSRC2:TGID_Y_EN: 0
; COMPUTE_PGM_RSRC2:TGID_Z_EN: 0
; COMPUTE_PGM_RSRC2:TIDIG_COMP_CNT: 0
; COMPUTE_PGM_RSRC3_GFX90A:ACCUM_OFFSET: 1
; COMPUTE_PGM_RSRC3_GFX90A:TG_SPLIT: 0
	.section	.text._Z20warp_exchange_kernelILj256ELj1ELj32EN6common18StripedToBlockedOpEoEvPT3_j,"axG",@progbits,_Z20warp_exchange_kernelILj256ELj1ELj32EN6common18StripedToBlockedOpEoEvPT3_j,comdat
	.protected	_Z20warp_exchange_kernelILj256ELj1ELj32EN6common18StripedToBlockedOpEoEvPT3_j ; -- Begin function _Z20warp_exchange_kernelILj256ELj1ELj32EN6common18StripedToBlockedOpEoEvPT3_j
	.globl	_Z20warp_exchange_kernelILj256ELj1ELj32EN6common18StripedToBlockedOpEoEvPT3_j
	.p2align	8
	.type	_Z20warp_exchange_kernelILj256ELj1ELj32EN6common18StripedToBlockedOpEoEvPT3_j,@function
_Z20warp_exchange_kernelILj256ELj1ELj32EN6common18StripedToBlockedOpEoEvPT3_j: ; @_Z20warp_exchange_kernelILj256ELj1ELj32EN6common18StripedToBlockedOpEoEvPT3_j
; %bb.0:
	s_load_dword s3, s[0:1], 0x8
	v_mov_b32_e32 v1, 0
	v_mov_b64_e32 v[4:5], 0
	s_waitcnt lgkmcnt(0)
	s_cmp_eq_u32 s3, 0
	s_cbranch_scc1 .LBB71_3
; %bb.1:
	v_mbcnt_lo_u32_b32 v3, -1, 0
	v_mbcnt_hi_u32_b32 v3, -1, v3
	v_and_b32_e32 v3, 31, v3
	v_lshlrev_b32_e32 v2, 4, v0
	v_lshlrev_b32_e32 v3, 4, v3
	s_movk_i32 s4, 0xe00
	v_and_or_b32 v6, v2, s4, v3
	v_mov_b64_e32 v[2:3], v[0:1]
.LBB71_2:                               ; =>This Inner Loop Header: Depth=1
	s_waitcnt lgkmcnt(0)
	ds_write_b128 v6, v[2:5]
	; wave barrier
	ds_read_b128 v[2:5], v6
	s_add_i32 s3, s3, -1
	s_cmp_lg_u32 s3, 0
	; wave barrier
	s_cbranch_scc1 .LBB71_2
	s_branch .LBB71_4
.LBB71_3:
	v_mov_b64_e32 v[2:3], v[0:1]
.LBB71_4:
	s_load_dwordx2 s[0:1], s[0:1], 0x0
	v_lshl_or_b32 v0, s2, 8, v0
	v_mov_b32_e32 v1, 0
	s_waitcnt lgkmcnt(0)
	v_lshl_add_u64 v[0:1], v[0:1], 4, s[0:1]
	global_store_dwordx4 v[0:1], v[2:5], off
	s_endpgm
	.section	.rodata,"a",@progbits
	.p2align	6, 0x0
	.amdhsa_kernel _Z20warp_exchange_kernelILj256ELj1ELj32EN6common18StripedToBlockedOpEoEvPT3_j
		.amdhsa_group_segment_fixed_size 4096
		.amdhsa_private_segment_fixed_size 0
		.amdhsa_kernarg_size 12
		.amdhsa_user_sgpr_count 2
		.amdhsa_user_sgpr_dispatch_ptr 0
		.amdhsa_user_sgpr_queue_ptr 0
		.amdhsa_user_sgpr_kernarg_segment_ptr 1
		.amdhsa_user_sgpr_dispatch_id 0
		.amdhsa_user_sgpr_kernarg_preload_length 0
		.amdhsa_user_sgpr_kernarg_preload_offset 0
		.amdhsa_user_sgpr_private_segment_size 0
		.amdhsa_uses_dynamic_stack 0
		.amdhsa_enable_private_segment 0
		.amdhsa_system_sgpr_workgroup_id_x 1
		.amdhsa_system_sgpr_workgroup_id_y 0
		.amdhsa_system_sgpr_workgroup_id_z 0
		.amdhsa_system_sgpr_workgroup_info 0
		.amdhsa_system_vgpr_workitem_id 0
		.amdhsa_next_free_vgpr 7
		.amdhsa_next_free_sgpr 5
		.amdhsa_accum_offset 8
		.amdhsa_reserve_vcc 0
		.amdhsa_float_round_mode_32 0
		.amdhsa_float_round_mode_16_64 0
		.amdhsa_float_denorm_mode_32 3
		.amdhsa_float_denorm_mode_16_64 3
		.amdhsa_dx10_clamp 1
		.amdhsa_ieee_mode 1
		.amdhsa_fp16_overflow 0
		.amdhsa_tg_split 0
		.amdhsa_exception_fp_ieee_invalid_op 0
		.amdhsa_exception_fp_denorm_src 0
		.amdhsa_exception_fp_ieee_div_zero 0
		.amdhsa_exception_fp_ieee_overflow 0
		.amdhsa_exception_fp_ieee_underflow 0
		.amdhsa_exception_fp_ieee_inexact 0
		.amdhsa_exception_int_div_zero 0
	.end_amdhsa_kernel
	.section	.text._Z20warp_exchange_kernelILj256ELj1ELj32EN6common18StripedToBlockedOpEoEvPT3_j,"axG",@progbits,_Z20warp_exchange_kernelILj256ELj1ELj32EN6common18StripedToBlockedOpEoEvPT3_j,comdat
.Lfunc_end71:
	.size	_Z20warp_exchange_kernelILj256ELj1ELj32EN6common18StripedToBlockedOpEoEvPT3_j, .Lfunc_end71-_Z20warp_exchange_kernelILj256ELj1ELj32EN6common18StripedToBlockedOpEoEvPT3_j
                                        ; -- End function
	.section	.AMDGPU.csdata,"",@progbits
; Kernel info:
; codeLenInByte = 156
; NumSgprs: 11
; NumVgprs: 7
; NumAgprs: 0
; TotalNumVgprs: 7
; ScratchSize: 0
; MemoryBound: 0
; FloatMode: 240
; IeeeMode: 1
; LDSByteSize: 4096 bytes/workgroup (compile time only)
; SGPRBlocks: 1
; VGPRBlocks: 0
; NumSGPRsForWavesPerEU: 11
; NumVGPRsForWavesPerEU: 7
; AccumOffset: 8
; Occupancy: 8
; WaveLimiterHint : 0
; COMPUTE_PGM_RSRC2:SCRATCH_EN: 0
; COMPUTE_PGM_RSRC2:USER_SGPR: 2
; COMPUTE_PGM_RSRC2:TRAP_HANDLER: 0
; COMPUTE_PGM_RSRC2:TGID_X_EN: 1
; COMPUTE_PGM_RSRC2:TGID_Y_EN: 0
; COMPUTE_PGM_RSRC2:TGID_Z_EN: 0
; COMPUTE_PGM_RSRC2:TIDIG_COMP_CNT: 0
; COMPUTE_PGM_RSRC3_GFX90A:ACCUM_OFFSET: 1
; COMPUTE_PGM_RSRC3_GFX90A:TG_SPLIT: 0
	.section	.text._Z20warp_exchange_kernelILj256ELj4ELj16EN6common18StripedToBlockedOpEoEvPT3_j,"axG",@progbits,_Z20warp_exchange_kernelILj256ELj4ELj16EN6common18StripedToBlockedOpEoEvPT3_j,comdat
	.protected	_Z20warp_exchange_kernelILj256ELj4ELj16EN6common18StripedToBlockedOpEoEvPT3_j ; -- Begin function _Z20warp_exchange_kernelILj256ELj4ELj16EN6common18StripedToBlockedOpEoEvPT3_j
	.globl	_Z20warp_exchange_kernelILj256ELj4ELj16EN6common18StripedToBlockedOpEoEvPT3_j
	.p2align	8
	.type	_Z20warp_exchange_kernelILj256ELj4ELj16EN6common18StripedToBlockedOpEoEvPT3_j,@function
_Z20warp_exchange_kernelILj256ELj4ELj16EN6common18StripedToBlockedOpEoEvPT3_j: ; @_Z20warp_exchange_kernelILj256ELj4ELj16EN6common18StripedToBlockedOpEoEvPT3_j
; %bb.0:
	s_load_dword s3, s[0:1], 0x8
	v_lshlrev_b32_e32 v18, 2, v0
	v_or_b32_e32 v10, 1, v18
	v_or_b32_e32 v6, 2, v18
	;; [unrolled: 1-line block ×3, first 2 shown]
	s_waitcnt lgkmcnt(0)
	s_cmp_eq_u32 s3, 0
	s_cbranch_scc1 .LBB72_3
; %bb.1:
	v_mbcnt_lo_u32_b32 v1, -1, 0
	v_mbcnt_hi_u32_b32 v1, -1, v1
	v_and_b32_e32 v1, 15, v1
	v_mov_b32_e32 v3, 0
	v_lshlrev_b32_e32 v0, 6, v0
	v_lshlrev_b32_e32 v8, 4, v1
	s_movk_i32 s4, 0x3c00
	v_mov_b64_e32 v[4:5], 0
	v_mov_b32_e32 v19, v3
	v_and_or_b32 v0, v0, s4, v8
	v_mul_u32_u24_e32 v1, 48, v1
	v_mov_b64_e32 v[16:17], 0
	v_mov_b32_e32 v7, v3
	v_mov_b32_e32 v11, v3
	v_add_u32_e32 v1, v0, v1
	v_mov_b64_e32 v[8:9], v[4:5]
	v_mov_b64_e32 v[12:13], v[4:5]
	;; [unrolled: 1-line block ×3, first 2 shown]
.LBB72_2:                               ; =>This Inner Loop Header: Depth=1
	s_waitcnt lgkmcnt(3)
	ds_write_b128 v0, v[14:17]
	s_waitcnt lgkmcnt(3)
	ds_write_b128 v0, v[10:13] offset:256
	s_waitcnt lgkmcnt(3)
	ds_write_b128 v0, v[6:9] offset:512
	;; [unrolled: 2-line block ×3, first 2 shown]
	; wave barrier
	ds_read_b128 v[14:17], v1
	ds_read_b128 v[10:13], v1 offset:16
	ds_read_b128 v[6:9], v1 offset:32
	;; [unrolled: 1-line block ×3, first 2 shown]
	s_add_i32 s3, s3, -1
	s_cmp_lg_u32 s3, 0
	; wave barrier
	s_cbranch_scc1 .LBB72_2
	s_branch .LBB72_4
.LBB72_3:
	v_mov_b32_e32 v19, 0
	v_mov_b64_e32 v[16:17], 0
	v_mov_b64_e32 v[4:5], 0
	v_mov_b32_e32 v11, v19
	v_mov_b32_e32 v7, v19
	;; [unrolled: 1-line block ×3, first 2 shown]
	v_mov_b64_e32 v[14:15], v[18:19]
	v_mov_b64_e32 v[12:13], v[16:17]
	;; [unrolled: 1-line block ×3, first 2 shown]
.LBB72_4:
	s_load_dwordx2 s[0:1], s[0:1], 0x0
	v_lshl_or_b32 v0, s2, 10, v18
	v_mov_b32_e32 v1, 0
	s_waitcnt lgkmcnt(0)
	v_lshl_add_u64 v[0:1], v[0:1], 4, s[0:1]
	global_store_dwordx4 v[0:1], v[14:17], off
	global_store_dwordx4 v[0:1], v[10:13], off offset:16
	global_store_dwordx4 v[0:1], v[6:9], off offset:32
	;; [unrolled: 1-line block ×3, first 2 shown]
	s_endpgm
	.section	.rodata,"a",@progbits
	.p2align	6, 0x0
	.amdhsa_kernel _Z20warp_exchange_kernelILj256ELj4ELj16EN6common18StripedToBlockedOpEoEvPT3_j
		.amdhsa_group_segment_fixed_size 16384
		.amdhsa_private_segment_fixed_size 0
		.amdhsa_kernarg_size 12
		.amdhsa_user_sgpr_count 2
		.amdhsa_user_sgpr_dispatch_ptr 0
		.amdhsa_user_sgpr_queue_ptr 0
		.amdhsa_user_sgpr_kernarg_segment_ptr 1
		.amdhsa_user_sgpr_dispatch_id 0
		.amdhsa_user_sgpr_kernarg_preload_length 0
		.amdhsa_user_sgpr_kernarg_preload_offset 0
		.amdhsa_user_sgpr_private_segment_size 0
		.amdhsa_uses_dynamic_stack 0
		.amdhsa_enable_private_segment 0
		.amdhsa_system_sgpr_workgroup_id_x 1
		.amdhsa_system_sgpr_workgroup_id_y 0
		.amdhsa_system_sgpr_workgroup_id_z 0
		.amdhsa_system_sgpr_workgroup_info 0
		.amdhsa_system_vgpr_workitem_id 0
		.amdhsa_next_free_vgpr 20
		.amdhsa_next_free_sgpr 5
		.amdhsa_accum_offset 20
		.amdhsa_reserve_vcc 0
		.amdhsa_float_round_mode_32 0
		.amdhsa_float_round_mode_16_64 0
		.amdhsa_float_denorm_mode_32 3
		.amdhsa_float_denorm_mode_16_64 3
		.amdhsa_dx10_clamp 1
		.amdhsa_ieee_mode 1
		.amdhsa_fp16_overflow 0
		.amdhsa_tg_split 0
		.amdhsa_exception_fp_ieee_invalid_op 0
		.amdhsa_exception_fp_denorm_src 0
		.amdhsa_exception_fp_ieee_div_zero 0
		.amdhsa_exception_fp_ieee_overflow 0
		.amdhsa_exception_fp_ieee_underflow 0
		.amdhsa_exception_fp_ieee_inexact 0
		.amdhsa_exception_int_div_zero 0
	.end_amdhsa_kernel
	.section	.text._Z20warp_exchange_kernelILj256ELj4ELj16EN6common18StripedToBlockedOpEoEvPT3_j,"axG",@progbits,_Z20warp_exchange_kernelILj256ELj4ELj16EN6common18StripedToBlockedOpEoEvPT3_j,comdat
.Lfunc_end72:
	.size	_Z20warp_exchange_kernelILj256ELj4ELj16EN6common18StripedToBlockedOpEoEvPT3_j, .Lfunc_end72-_Z20warp_exchange_kernelILj256ELj4ELj16EN6common18StripedToBlockedOpEoEvPT3_j
                                        ; -- End function
	.section	.AMDGPU.csdata,"",@progbits
; Kernel info:
; codeLenInByte = 320
; NumSgprs: 11
; NumVgprs: 20
; NumAgprs: 0
; TotalNumVgprs: 20
; ScratchSize: 0
; MemoryBound: 0
; FloatMode: 240
; IeeeMode: 1
; LDSByteSize: 16384 bytes/workgroup (compile time only)
; SGPRBlocks: 1
; VGPRBlocks: 2
; NumSGPRsForWavesPerEU: 11
; NumVGPRsForWavesPerEU: 20
; AccumOffset: 20
; Occupancy: 4
; WaveLimiterHint : 0
; COMPUTE_PGM_RSRC2:SCRATCH_EN: 0
; COMPUTE_PGM_RSRC2:USER_SGPR: 2
; COMPUTE_PGM_RSRC2:TRAP_HANDLER: 0
; COMPUTE_PGM_RSRC2:TGID_X_EN: 1
; COMPUTE_PGM_RSRC2:TGID_Y_EN: 0
; COMPUTE_PGM_RSRC2:TGID_Z_EN: 0
; COMPUTE_PGM_RSRC2:TIDIG_COMP_CNT: 0
; COMPUTE_PGM_RSRC3_GFX90A:ACCUM_OFFSET: 4
; COMPUTE_PGM_RSRC3_GFX90A:TG_SPLIT: 0
	.section	.text._Z20warp_exchange_kernelILj256ELj4ELj32EN6common18StripedToBlockedOpEoEvPT3_j,"axG",@progbits,_Z20warp_exchange_kernelILj256ELj4ELj32EN6common18StripedToBlockedOpEoEvPT3_j,comdat
	.protected	_Z20warp_exchange_kernelILj256ELj4ELj32EN6common18StripedToBlockedOpEoEvPT3_j ; -- Begin function _Z20warp_exchange_kernelILj256ELj4ELj32EN6common18StripedToBlockedOpEoEvPT3_j
	.globl	_Z20warp_exchange_kernelILj256ELj4ELj32EN6common18StripedToBlockedOpEoEvPT3_j
	.p2align	8
	.type	_Z20warp_exchange_kernelILj256ELj4ELj32EN6common18StripedToBlockedOpEoEvPT3_j,@function
_Z20warp_exchange_kernelILj256ELj4ELj32EN6common18StripedToBlockedOpEoEvPT3_j: ; @_Z20warp_exchange_kernelILj256ELj4ELj32EN6common18StripedToBlockedOpEoEvPT3_j
; %bb.0:
	s_load_dword s3, s[0:1], 0x8
	v_lshlrev_b32_e32 v18, 2, v0
	v_or_b32_e32 v10, 1, v18
	v_or_b32_e32 v6, 2, v18
	;; [unrolled: 1-line block ×3, first 2 shown]
	s_waitcnt lgkmcnt(0)
	s_cmp_eq_u32 s3, 0
	s_cbranch_scc1 .LBB73_3
; %bb.1:
	v_mbcnt_lo_u32_b32 v1, -1, 0
	v_mbcnt_hi_u32_b32 v1, -1, v1
	v_and_b32_e32 v1, 31, v1
	v_mov_b32_e32 v3, 0
	v_lshlrev_b32_e32 v0, 6, v0
	v_lshlrev_b32_e32 v8, 4, v1
	s_movk_i32 s4, 0x3800
	v_mov_b64_e32 v[4:5], 0
	v_mov_b32_e32 v19, v3
	v_and_or_b32 v0, v0, s4, v8
	v_mul_u32_u24_e32 v1, 48, v1
	v_mov_b64_e32 v[16:17], 0
	v_mov_b32_e32 v7, v3
	v_mov_b32_e32 v11, v3
	v_add_u32_e32 v1, v0, v1
	v_mov_b64_e32 v[8:9], v[4:5]
	v_mov_b64_e32 v[12:13], v[4:5]
	v_mov_b64_e32 v[14:15], v[18:19]
.LBB73_2:                               ; =>This Inner Loop Header: Depth=1
	s_waitcnt lgkmcnt(3)
	ds_write_b128 v0, v[14:17]
	s_waitcnt lgkmcnt(3)
	ds_write_b128 v0, v[10:13] offset:512
	s_waitcnt lgkmcnt(3)
	ds_write_b128 v0, v[6:9] offset:1024
	;; [unrolled: 2-line block ×3, first 2 shown]
	; wave barrier
	ds_read_b128 v[14:17], v1
	ds_read_b128 v[10:13], v1 offset:16
	ds_read_b128 v[6:9], v1 offset:32
	ds_read_b128 v[2:5], v1 offset:48
	s_add_i32 s3, s3, -1
	s_cmp_lg_u32 s3, 0
	; wave barrier
	s_cbranch_scc1 .LBB73_2
	s_branch .LBB73_4
.LBB73_3:
	v_mov_b32_e32 v19, 0
	v_mov_b64_e32 v[16:17], 0
	v_mov_b64_e32 v[4:5], 0
	v_mov_b32_e32 v11, v19
	v_mov_b32_e32 v7, v19
	;; [unrolled: 1-line block ×3, first 2 shown]
	v_mov_b64_e32 v[14:15], v[18:19]
	v_mov_b64_e32 v[12:13], v[16:17]
	;; [unrolled: 1-line block ×3, first 2 shown]
.LBB73_4:
	s_load_dwordx2 s[0:1], s[0:1], 0x0
	v_lshl_or_b32 v0, s2, 10, v18
	v_mov_b32_e32 v1, 0
	s_waitcnt lgkmcnt(0)
	v_lshl_add_u64 v[0:1], v[0:1], 4, s[0:1]
	global_store_dwordx4 v[0:1], v[14:17], off
	global_store_dwordx4 v[0:1], v[10:13], off offset:16
	global_store_dwordx4 v[0:1], v[6:9], off offset:32
	;; [unrolled: 1-line block ×3, first 2 shown]
	s_endpgm
	.section	.rodata,"a",@progbits
	.p2align	6, 0x0
	.amdhsa_kernel _Z20warp_exchange_kernelILj256ELj4ELj32EN6common18StripedToBlockedOpEoEvPT3_j
		.amdhsa_group_segment_fixed_size 16384
		.amdhsa_private_segment_fixed_size 0
		.amdhsa_kernarg_size 12
		.amdhsa_user_sgpr_count 2
		.amdhsa_user_sgpr_dispatch_ptr 0
		.amdhsa_user_sgpr_queue_ptr 0
		.amdhsa_user_sgpr_kernarg_segment_ptr 1
		.amdhsa_user_sgpr_dispatch_id 0
		.amdhsa_user_sgpr_kernarg_preload_length 0
		.amdhsa_user_sgpr_kernarg_preload_offset 0
		.amdhsa_user_sgpr_private_segment_size 0
		.amdhsa_uses_dynamic_stack 0
		.amdhsa_enable_private_segment 0
		.amdhsa_system_sgpr_workgroup_id_x 1
		.amdhsa_system_sgpr_workgroup_id_y 0
		.amdhsa_system_sgpr_workgroup_id_z 0
		.amdhsa_system_sgpr_workgroup_info 0
		.amdhsa_system_vgpr_workitem_id 0
		.amdhsa_next_free_vgpr 20
		.amdhsa_next_free_sgpr 5
		.amdhsa_accum_offset 20
		.amdhsa_reserve_vcc 0
		.amdhsa_float_round_mode_32 0
		.amdhsa_float_round_mode_16_64 0
		.amdhsa_float_denorm_mode_32 3
		.amdhsa_float_denorm_mode_16_64 3
		.amdhsa_dx10_clamp 1
		.amdhsa_ieee_mode 1
		.amdhsa_fp16_overflow 0
		.amdhsa_tg_split 0
		.amdhsa_exception_fp_ieee_invalid_op 0
		.amdhsa_exception_fp_denorm_src 0
		.amdhsa_exception_fp_ieee_div_zero 0
		.amdhsa_exception_fp_ieee_overflow 0
		.amdhsa_exception_fp_ieee_underflow 0
		.amdhsa_exception_fp_ieee_inexact 0
		.amdhsa_exception_int_div_zero 0
	.end_amdhsa_kernel
	.section	.text._Z20warp_exchange_kernelILj256ELj4ELj32EN6common18StripedToBlockedOpEoEvPT3_j,"axG",@progbits,_Z20warp_exchange_kernelILj256ELj4ELj32EN6common18StripedToBlockedOpEoEvPT3_j,comdat
.Lfunc_end73:
	.size	_Z20warp_exchange_kernelILj256ELj4ELj32EN6common18StripedToBlockedOpEoEvPT3_j, .Lfunc_end73-_Z20warp_exchange_kernelILj256ELj4ELj32EN6common18StripedToBlockedOpEoEvPT3_j
                                        ; -- End function
	.section	.AMDGPU.csdata,"",@progbits
; Kernel info:
; codeLenInByte = 320
; NumSgprs: 11
; NumVgprs: 20
; NumAgprs: 0
; TotalNumVgprs: 20
; ScratchSize: 0
; MemoryBound: 0
; FloatMode: 240
; IeeeMode: 1
; LDSByteSize: 16384 bytes/workgroup (compile time only)
; SGPRBlocks: 1
; VGPRBlocks: 2
; NumSGPRsForWavesPerEU: 11
; NumVGPRsForWavesPerEU: 20
; AccumOffset: 20
; Occupancy: 4
; WaveLimiterHint : 0
; COMPUTE_PGM_RSRC2:SCRATCH_EN: 0
; COMPUTE_PGM_RSRC2:USER_SGPR: 2
; COMPUTE_PGM_RSRC2:TRAP_HANDLER: 0
; COMPUTE_PGM_RSRC2:TGID_X_EN: 1
; COMPUTE_PGM_RSRC2:TGID_Y_EN: 0
; COMPUTE_PGM_RSRC2:TGID_Z_EN: 0
; COMPUTE_PGM_RSRC2:TIDIG_COMP_CNT: 0
; COMPUTE_PGM_RSRC3_GFX90A:ACCUM_OFFSET: 4
; COMPUTE_PGM_RSRC3_GFX90A:TG_SPLIT: 0
	.section	.text._Z20warp_exchange_kernelILj256ELj16ELj16EN6common18StripedToBlockedOpEoEvPT3_j,"axG",@progbits,_Z20warp_exchange_kernelILj256ELj16ELj16EN6common18StripedToBlockedOpEoEvPT3_j,comdat
	.protected	_Z20warp_exchange_kernelILj256ELj16ELj16EN6common18StripedToBlockedOpEoEvPT3_j ; -- Begin function _Z20warp_exchange_kernelILj256ELj16ELj16EN6common18StripedToBlockedOpEoEvPT3_j
	.globl	_Z20warp_exchange_kernelILj256ELj16ELj16EN6common18StripedToBlockedOpEoEvPT3_j
	.p2align	8
	.type	_Z20warp_exchange_kernelILj256ELj16ELj16EN6common18StripedToBlockedOpEoEvPT3_j,@function
_Z20warp_exchange_kernelILj256ELj16ELj16EN6common18StripedToBlockedOpEoEvPT3_j: ; @_Z20warp_exchange_kernelILj256ELj16ELj16EN6common18StripedToBlockedOpEoEvPT3_j
; %bb.0:
	s_load_dword s3, s[0:1], 0x8
	v_lshlrev_b32_e32 v66, 4, v0
	v_or_b32_e32 v58, 1, v66
	v_or_b32_e32 v46, 2, v66
	;; [unrolled: 1-line block ×14, first 2 shown]
	s_waitcnt lgkmcnt(0)
	s_cmp_eq_u32 s3, 0
	v_or_b32_e32 v2, 15, v66
	s_cbranch_scc1 .LBB74_3
; %bb.1:
	v_mbcnt_lo_u32_b32 v1, -1, 0
	v_mbcnt_hi_u32_b32 v1, -1, v1
	v_and_b32_e32 v1, 15, v1
	v_mov_b32_e32 v3, 0
	v_lshlrev_b32_e32 v0, 8, v0
	v_lshlrev_b32_e32 v8, 4, v1
	s_mov_b32 s4, 0xf000
	v_mov_b64_e32 v[4:5], 0
	v_mov_b32_e32 v67, v3
	v_and_or_b32 v0, v0, s4, v8
	v_mul_u32_u24_e32 v1, 0xf0, v1
	v_mov_b64_e32 v[64:65], 0
	v_mov_b32_e32 v7, v3
	v_mov_b32_e32 v11, v3
	v_mov_b32_e32 v15, v3
	v_mov_b32_e32 v19, v3
	v_mov_b32_e32 v23, v3
	v_mov_b32_e32 v27, v3
	v_mov_b32_e32 v31, v3
	v_mov_b32_e32 v39, v3
	v_mov_b32_e32 v43, v3
	v_mov_b32_e32 v51, v3
	v_mov_b32_e32 v55, v3
	v_mov_b32_e32 v35, v3
	v_mov_b32_e32 v47, v3
	v_mov_b32_e32 v59, v3
	v_add_u32_e32 v1, v0, v1
	v_mov_b64_e32 v[8:9], v[4:5]
	v_mov_b64_e32 v[12:13], v[4:5]
	;; [unrolled: 1-line block ×15, first 2 shown]
.LBB74_2:                               ; =>This Inner Loop Header: Depth=1
	s_waitcnt lgkmcnt(14)
	ds_write_b128 v0, v[62:65]
	ds_write_b128 v0, v[58:61] offset:256
	s_waitcnt lgkmcnt(14)
	ds_write_b128 v0, v[46:49] offset:512
	ds_write_b128 v0, v[34:37] offset:768
	s_waitcnt lgkmcnt(14)
	ds_write_b128 v0, v[54:57] offset:1024
	;; [unrolled: 3-line block ×7, first 2 shown]
	ds_write_b128 v0, v[2:5] offset:3840
	; wave barrier
	ds_read_b128 v[62:65], v1
	ds_read_b128 v[58:61], v1 offset:16
	ds_read_b128 v[46:49], v1 offset:32
	;; [unrolled: 1-line block ×15, first 2 shown]
	s_add_i32 s3, s3, -1
	s_cmp_lg_u32 s3, 0
	; wave barrier
	s_cbranch_scc1 .LBB74_2
	s_branch .LBB74_4
.LBB74_3:
	v_mov_b32_e32 v67, 0
	v_mov_b64_e32 v[64:65], 0
	v_mov_b64_e32 v[4:5], 0
	v_mov_b32_e32 v59, v67
	v_mov_b32_e32 v47, v67
	v_mov_b32_e32 v35, v67
	v_mov_b32_e32 v55, v67
	v_mov_b32_e32 v51, v67
	v_mov_b32_e32 v43, v67
	v_mov_b32_e32 v39, v67
	v_mov_b32_e32 v31, v67
	v_mov_b32_e32 v27, v67
	v_mov_b32_e32 v23, v67
	v_mov_b32_e32 v19, v67
	v_mov_b32_e32 v15, v67
	v_mov_b32_e32 v11, v67
	v_mov_b32_e32 v7, v67
	v_mov_b32_e32 v3, v67
	v_mov_b64_e32 v[62:63], v[66:67]
	v_mov_b64_e32 v[60:61], v[64:65]
	;; [unrolled: 1-line block ×15, first 2 shown]
.LBB74_4:
	s_load_dwordx2 s[0:1], s[0:1], 0x0
	v_lshl_or_b32 v0, s2, 12, v66
	v_mov_b32_e32 v1, 0
	s_waitcnt lgkmcnt(0)
	v_lshl_add_u64 v[0:1], v[0:1], 4, s[0:1]
	global_store_dwordx4 v[0:1], v[62:65], off
	global_store_dwordx4 v[0:1], v[58:61], off offset:16
	global_store_dwordx4 v[0:1], v[46:49], off offset:32
	;; [unrolled: 1-line block ×15, first 2 shown]
	s_endpgm
	.section	.rodata,"a",@progbits
	.p2align	6, 0x0
	.amdhsa_kernel _Z20warp_exchange_kernelILj256ELj16ELj16EN6common18StripedToBlockedOpEoEvPT3_j
		.amdhsa_group_segment_fixed_size 65536
		.amdhsa_private_segment_fixed_size 0
		.amdhsa_kernarg_size 12
		.amdhsa_user_sgpr_count 2
		.amdhsa_user_sgpr_dispatch_ptr 0
		.amdhsa_user_sgpr_queue_ptr 0
		.amdhsa_user_sgpr_kernarg_segment_ptr 1
		.amdhsa_user_sgpr_dispatch_id 0
		.amdhsa_user_sgpr_kernarg_preload_length 0
		.amdhsa_user_sgpr_kernarg_preload_offset 0
		.amdhsa_user_sgpr_private_segment_size 0
		.amdhsa_uses_dynamic_stack 0
		.amdhsa_enable_private_segment 0
		.amdhsa_system_sgpr_workgroup_id_x 1
		.amdhsa_system_sgpr_workgroup_id_y 0
		.amdhsa_system_sgpr_workgroup_id_z 0
		.amdhsa_system_sgpr_workgroup_info 0
		.amdhsa_system_vgpr_workitem_id 0
		.amdhsa_next_free_vgpr 68
		.amdhsa_next_free_sgpr 5
		.amdhsa_accum_offset 68
		.amdhsa_reserve_vcc 0
		.amdhsa_float_round_mode_32 0
		.amdhsa_float_round_mode_16_64 0
		.amdhsa_float_denorm_mode_32 3
		.amdhsa_float_denorm_mode_16_64 3
		.amdhsa_dx10_clamp 1
		.amdhsa_ieee_mode 1
		.amdhsa_fp16_overflow 0
		.amdhsa_tg_split 0
		.amdhsa_exception_fp_ieee_invalid_op 0
		.amdhsa_exception_fp_denorm_src 0
		.amdhsa_exception_fp_ieee_div_zero 0
		.amdhsa_exception_fp_ieee_overflow 0
		.amdhsa_exception_fp_ieee_underflow 0
		.amdhsa_exception_fp_ieee_inexact 0
		.amdhsa_exception_int_div_zero 0
	.end_amdhsa_kernel
	.section	.text._Z20warp_exchange_kernelILj256ELj16ELj16EN6common18StripedToBlockedOpEoEvPT3_j,"axG",@progbits,_Z20warp_exchange_kernelILj256ELj16ELj16EN6common18StripedToBlockedOpEoEvPT3_j,comdat
.Lfunc_end74:
	.size	_Z20warp_exchange_kernelILj256ELj16ELj16EN6common18StripedToBlockedOpEoEvPT3_j, .Lfunc_end74-_Z20warp_exchange_kernelILj256ELj16ELj16EN6common18StripedToBlockedOpEoEvPT3_j
                                        ; -- End function
	.section	.AMDGPU.csdata,"",@progbits
; Kernel info:
; codeLenInByte = 872
; NumSgprs: 11
; NumVgprs: 68
; NumAgprs: 0
; TotalNumVgprs: 68
; ScratchSize: 0
; MemoryBound: 1
; FloatMode: 240
; IeeeMode: 1
; LDSByteSize: 65536 bytes/workgroup (compile time only)
; SGPRBlocks: 1
; VGPRBlocks: 8
; NumSGPRsForWavesPerEU: 11
; NumVGPRsForWavesPerEU: 68
; AccumOffset: 68
; Occupancy: 1
; WaveLimiterHint : 1
; COMPUTE_PGM_RSRC2:SCRATCH_EN: 0
; COMPUTE_PGM_RSRC2:USER_SGPR: 2
; COMPUTE_PGM_RSRC2:TRAP_HANDLER: 0
; COMPUTE_PGM_RSRC2:TGID_X_EN: 1
; COMPUTE_PGM_RSRC2:TGID_Y_EN: 0
; COMPUTE_PGM_RSRC2:TGID_Z_EN: 0
; COMPUTE_PGM_RSRC2:TIDIG_COMP_CNT: 0
; COMPUTE_PGM_RSRC3_GFX90A:ACCUM_OFFSET: 16
; COMPUTE_PGM_RSRC3_GFX90A:TG_SPLIT: 0
	.section	.text._Z20warp_exchange_kernelILj256ELj16ELj32EN6common18StripedToBlockedOpEoEvPT3_j,"axG",@progbits,_Z20warp_exchange_kernelILj256ELj16ELj32EN6common18StripedToBlockedOpEoEvPT3_j,comdat
	.protected	_Z20warp_exchange_kernelILj256ELj16ELj32EN6common18StripedToBlockedOpEoEvPT3_j ; -- Begin function _Z20warp_exchange_kernelILj256ELj16ELj32EN6common18StripedToBlockedOpEoEvPT3_j
	.globl	_Z20warp_exchange_kernelILj256ELj16ELj32EN6common18StripedToBlockedOpEoEvPT3_j
	.p2align	8
	.type	_Z20warp_exchange_kernelILj256ELj16ELj32EN6common18StripedToBlockedOpEoEvPT3_j,@function
_Z20warp_exchange_kernelILj256ELj16ELj32EN6common18StripedToBlockedOpEoEvPT3_j: ; @_Z20warp_exchange_kernelILj256ELj16ELj32EN6common18StripedToBlockedOpEoEvPT3_j
; %bb.0:
	s_load_dword s3, s[0:1], 0x8
	v_lshlrev_b32_e32 v66, 4, v0
	v_or_b32_e32 v58, 1, v66
	v_or_b32_e32 v46, 2, v66
	;; [unrolled: 1-line block ×14, first 2 shown]
	s_waitcnt lgkmcnt(0)
	s_cmp_eq_u32 s3, 0
	v_or_b32_e32 v2, 15, v66
	s_cbranch_scc1 .LBB75_3
; %bb.1:
	v_mbcnt_lo_u32_b32 v1, -1, 0
	v_mbcnt_hi_u32_b32 v1, -1, v1
	v_and_b32_e32 v1, 31, v1
	v_mov_b32_e32 v3, 0
	v_lshlrev_b32_e32 v0, 8, v0
	v_lshlrev_b32_e32 v8, 4, v1
	s_mov_b32 s4, 0xe000
	v_mov_b64_e32 v[4:5], 0
	v_mov_b32_e32 v67, v3
	v_and_or_b32 v0, v0, s4, v8
	v_mul_u32_u24_e32 v1, 0xf0, v1
	v_mov_b64_e32 v[64:65], 0
	v_mov_b32_e32 v7, v3
	v_mov_b32_e32 v11, v3
	;; [unrolled: 1-line block ×14, first 2 shown]
	v_add_u32_e32 v1, v0, v1
	v_mov_b64_e32 v[8:9], v[4:5]
	v_mov_b64_e32 v[12:13], v[4:5]
	;; [unrolled: 1-line block ×15, first 2 shown]
.LBB75_2:                               ; =>This Inner Loop Header: Depth=1
	s_waitcnt lgkmcnt(14)
	ds_write_b128 v0, v[62:65]
	ds_write_b128 v0, v[58:61] offset:512
	s_waitcnt lgkmcnt(14)
	ds_write_b128 v0, v[46:49] offset:1024
	ds_write_b128 v0, v[34:37] offset:1536
	s_waitcnt lgkmcnt(14)
	ds_write_b128 v0, v[54:57] offset:2048
	;; [unrolled: 3-line block ×7, first 2 shown]
	ds_write_b128 v0, v[2:5] offset:7680
	; wave barrier
	ds_read_b128 v[62:65], v1
	ds_read_b128 v[58:61], v1 offset:16
	ds_read_b128 v[46:49], v1 offset:32
	;; [unrolled: 1-line block ×15, first 2 shown]
	s_add_i32 s3, s3, -1
	s_cmp_lg_u32 s3, 0
	; wave barrier
	s_cbranch_scc1 .LBB75_2
	s_branch .LBB75_4
.LBB75_3:
	v_mov_b32_e32 v67, 0
	v_mov_b64_e32 v[64:65], 0
	v_mov_b64_e32 v[4:5], 0
	v_mov_b32_e32 v59, v67
	v_mov_b32_e32 v47, v67
	;; [unrolled: 1-line block ×15, first 2 shown]
	v_mov_b64_e32 v[62:63], v[66:67]
	v_mov_b64_e32 v[60:61], v[64:65]
	;; [unrolled: 1-line block ×15, first 2 shown]
.LBB75_4:
	s_load_dwordx2 s[0:1], s[0:1], 0x0
	v_lshl_or_b32 v0, s2, 12, v66
	v_mov_b32_e32 v1, 0
	s_waitcnt lgkmcnt(0)
	v_lshl_add_u64 v[0:1], v[0:1], 4, s[0:1]
	global_store_dwordx4 v[0:1], v[62:65], off
	global_store_dwordx4 v[0:1], v[58:61], off offset:16
	global_store_dwordx4 v[0:1], v[46:49], off offset:32
	;; [unrolled: 1-line block ×15, first 2 shown]
	s_endpgm
	.section	.rodata,"a",@progbits
	.p2align	6, 0x0
	.amdhsa_kernel _Z20warp_exchange_kernelILj256ELj16ELj32EN6common18StripedToBlockedOpEoEvPT3_j
		.amdhsa_group_segment_fixed_size 65536
		.amdhsa_private_segment_fixed_size 0
		.amdhsa_kernarg_size 12
		.amdhsa_user_sgpr_count 2
		.amdhsa_user_sgpr_dispatch_ptr 0
		.amdhsa_user_sgpr_queue_ptr 0
		.amdhsa_user_sgpr_kernarg_segment_ptr 1
		.amdhsa_user_sgpr_dispatch_id 0
		.amdhsa_user_sgpr_kernarg_preload_length 0
		.amdhsa_user_sgpr_kernarg_preload_offset 0
		.amdhsa_user_sgpr_private_segment_size 0
		.amdhsa_uses_dynamic_stack 0
		.amdhsa_enable_private_segment 0
		.amdhsa_system_sgpr_workgroup_id_x 1
		.amdhsa_system_sgpr_workgroup_id_y 0
		.amdhsa_system_sgpr_workgroup_id_z 0
		.amdhsa_system_sgpr_workgroup_info 0
		.amdhsa_system_vgpr_workitem_id 0
		.amdhsa_next_free_vgpr 68
		.amdhsa_next_free_sgpr 5
		.amdhsa_accum_offset 68
		.amdhsa_reserve_vcc 0
		.amdhsa_float_round_mode_32 0
		.amdhsa_float_round_mode_16_64 0
		.amdhsa_float_denorm_mode_32 3
		.amdhsa_float_denorm_mode_16_64 3
		.amdhsa_dx10_clamp 1
		.amdhsa_ieee_mode 1
		.amdhsa_fp16_overflow 0
		.amdhsa_tg_split 0
		.amdhsa_exception_fp_ieee_invalid_op 0
		.amdhsa_exception_fp_denorm_src 0
		.amdhsa_exception_fp_ieee_div_zero 0
		.amdhsa_exception_fp_ieee_overflow 0
		.amdhsa_exception_fp_ieee_underflow 0
		.amdhsa_exception_fp_ieee_inexact 0
		.amdhsa_exception_int_div_zero 0
	.end_amdhsa_kernel
	.section	.text._Z20warp_exchange_kernelILj256ELj16ELj32EN6common18StripedToBlockedOpEoEvPT3_j,"axG",@progbits,_Z20warp_exchange_kernelILj256ELj16ELj32EN6common18StripedToBlockedOpEoEvPT3_j,comdat
.Lfunc_end75:
	.size	_Z20warp_exchange_kernelILj256ELj16ELj32EN6common18StripedToBlockedOpEoEvPT3_j, .Lfunc_end75-_Z20warp_exchange_kernelILj256ELj16ELj32EN6common18StripedToBlockedOpEoEvPT3_j
                                        ; -- End function
	.section	.AMDGPU.csdata,"",@progbits
; Kernel info:
; codeLenInByte = 872
; NumSgprs: 11
; NumVgprs: 68
; NumAgprs: 0
; TotalNumVgprs: 68
; ScratchSize: 0
; MemoryBound: 1
; FloatMode: 240
; IeeeMode: 1
; LDSByteSize: 65536 bytes/workgroup (compile time only)
; SGPRBlocks: 1
; VGPRBlocks: 8
; NumSGPRsForWavesPerEU: 11
; NumVGPRsForWavesPerEU: 68
; AccumOffset: 68
; Occupancy: 1
; WaveLimiterHint : 1
; COMPUTE_PGM_RSRC2:SCRATCH_EN: 0
; COMPUTE_PGM_RSRC2:USER_SGPR: 2
; COMPUTE_PGM_RSRC2:TRAP_HANDLER: 0
; COMPUTE_PGM_RSRC2:TGID_X_EN: 1
; COMPUTE_PGM_RSRC2:TGID_Y_EN: 0
; COMPUTE_PGM_RSRC2:TGID_Z_EN: 0
; COMPUTE_PGM_RSRC2:TIDIG_COMP_CNT: 0
; COMPUTE_PGM_RSRC3_GFX90A:ACCUM_OFFSET: 16
; COMPUTE_PGM_RSRC3_GFX90A:TG_SPLIT: 0
	.section	.text._Z20warp_exchange_kernelILj256ELj1ELj16EN6common25BlockedToStripedShuffleOpEoEvPT3_j,"axG",@progbits,_Z20warp_exchange_kernelILj256ELj1ELj16EN6common25BlockedToStripedShuffleOpEoEvPT3_j,comdat
	.protected	_Z20warp_exchange_kernelILj256ELj1ELj16EN6common25BlockedToStripedShuffleOpEoEvPT3_j ; -- Begin function _Z20warp_exchange_kernelILj256ELj1ELj16EN6common25BlockedToStripedShuffleOpEoEvPT3_j
	.globl	_Z20warp_exchange_kernelILj256ELj1ELj16EN6common25BlockedToStripedShuffleOpEoEvPT3_j
	.p2align	8
	.type	_Z20warp_exchange_kernelILj256ELj1ELj16EN6common25BlockedToStripedShuffleOpEoEvPT3_j,@function
_Z20warp_exchange_kernelILj256ELj1ELj16EN6common25BlockedToStripedShuffleOpEoEvPT3_j: ; @_Z20warp_exchange_kernelILj256ELj1ELj16EN6common25BlockedToStripedShuffleOpEoEvPT3_j
; %bb.0:
	s_load_dword s3, s[0:1], 0x8
	v_mov_b32_e32 v5, 0
	s_waitcnt lgkmcnt(0)
	s_cmp_eq_u32 s3, 0
	s_cbranch_scc1 .LBB76_3
; %bb.1:
	v_mbcnt_lo_u32_b32 v1, -1, 0
	v_mbcnt_hi_u32_b32 v1, -1, v1
	v_lshlrev_b32_e32 v1, 2, v1
	v_mov_b32_e32 v2, v0
	v_mov_b32_e32 v3, 0
	;; [unrolled: 1-line block ×3, first 2 shown]
.LBB76_2:                               ; =>This Inner Loop Header: Depth=1
	s_waitcnt lgkmcnt(3)
	ds_bpermute_b32 v2, v1, v2
	s_waitcnt lgkmcnt(3)
	ds_bpermute_b32 v3, v1, v3
	;; [unrolled: 2-line block ×4, first 2 shown]
	s_add_i32 s3, s3, -1
	s_cmp_lg_u32 s3, 0
	; wave barrier
	s_cbranch_scc1 .LBB76_2
	s_branch .LBB76_4
.LBB76_3:
	v_mov_b32_e32 v2, v0
	v_mov_b32_e32 v3, 0
	;; [unrolled: 1-line block ×3, first 2 shown]
.LBB76_4:
	s_load_dwordx2 s[0:1], s[0:1], 0x0
	v_lshl_or_b32 v0, s2, 8, v0
	v_mov_b32_e32 v1, 0
	s_waitcnt lgkmcnt(0)
	v_lshl_add_u64 v[0:1], v[0:1], 4, s[0:1]
	global_store_dwordx4 v[0:1], v[2:5], off
	s_endpgm
	.section	.rodata,"a",@progbits
	.p2align	6, 0x0
	.amdhsa_kernel _Z20warp_exchange_kernelILj256ELj1ELj16EN6common25BlockedToStripedShuffleOpEoEvPT3_j
		.amdhsa_group_segment_fixed_size 0
		.amdhsa_private_segment_fixed_size 0
		.amdhsa_kernarg_size 12
		.amdhsa_user_sgpr_count 2
		.amdhsa_user_sgpr_dispatch_ptr 0
		.amdhsa_user_sgpr_queue_ptr 0
		.amdhsa_user_sgpr_kernarg_segment_ptr 1
		.amdhsa_user_sgpr_dispatch_id 0
		.amdhsa_user_sgpr_kernarg_preload_length 0
		.amdhsa_user_sgpr_kernarg_preload_offset 0
		.amdhsa_user_sgpr_private_segment_size 0
		.amdhsa_uses_dynamic_stack 0
		.amdhsa_enable_private_segment 0
		.amdhsa_system_sgpr_workgroup_id_x 1
		.amdhsa_system_sgpr_workgroup_id_y 0
		.amdhsa_system_sgpr_workgroup_id_z 0
		.amdhsa_system_sgpr_workgroup_info 0
		.amdhsa_system_vgpr_workitem_id 0
		.amdhsa_next_free_vgpr 6
		.amdhsa_next_free_sgpr 4
		.amdhsa_accum_offset 8
		.amdhsa_reserve_vcc 0
		.amdhsa_float_round_mode_32 0
		.amdhsa_float_round_mode_16_64 0
		.amdhsa_float_denorm_mode_32 3
		.amdhsa_float_denorm_mode_16_64 3
		.amdhsa_dx10_clamp 1
		.amdhsa_ieee_mode 1
		.amdhsa_fp16_overflow 0
		.amdhsa_tg_split 0
		.amdhsa_exception_fp_ieee_invalid_op 0
		.amdhsa_exception_fp_denorm_src 0
		.amdhsa_exception_fp_ieee_div_zero 0
		.amdhsa_exception_fp_ieee_overflow 0
		.amdhsa_exception_fp_ieee_underflow 0
		.amdhsa_exception_fp_ieee_inexact 0
		.amdhsa_exception_int_div_zero 0
	.end_amdhsa_kernel
	.section	.text._Z20warp_exchange_kernelILj256ELj1ELj16EN6common25BlockedToStripedShuffleOpEoEvPT3_j,"axG",@progbits,_Z20warp_exchange_kernelILj256ELj1ELj16EN6common25BlockedToStripedShuffleOpEoEvPT3_j,comdat
.Lfunc_end76:
	.size	_Z20warp_exchange_kernelILj256ELj1ELj16EN6common25BlockedToStripedShuffleOpEoEvPT3_j, .Lfunc_end76-_Z20warp_exchange_kernelILj256ELj1ELj16EN6common25BlockedToStripedShuffleOpEoEvPT3_j
                                        ; -- End function
	.section	.AMDGPU.csdata,"",@progbits
; Kernel info:
; codeLenInByte = 176
; NumSgprs: 10
; NumVgprs: 6
; NumAgprs: 0
; TotalNumVgprs: 6
; ScratchSize: 0
; MemoryBound: 0
; FloatMode: 240
; IeeeMode: 1
; LDSByteSize: 0 bytes/workgroup (compile time only)
; SGPRBlocks: 1
; VGPRBlocks: 0
; NumSGPRsForWavesPerEU: 10
; NumVGPRsForWavesPerEU: 6
; AccumOffset: 8
; Occupancy: 8
; WaveLimiterHint : 0
; COMPUTE_PGM_RSRC2:SCRATCH_EN: 0
; COMPUTE_PGM_RSRC2:USER_SGPR: 2
; COMPUTE_PGM_RSRC2:TRAP_HANDLER: 0
; COMPUTE_PGM_RSRC2:TGID_X_EN: 1
; COMPUTE_PGM_RSRC2:TGID_Y_EN: 0
; COMPUTE_PGM_RSRC2:TGID_Z_EN: 0
; COMPUTE_PGM_RSRC2:TIDIG_COMP_CNT: 0
; COMPUTE_PGM_RSRC3_GFX90A:ACCUM_OFFSET: 1
; COMPUTE_PGM_RSRC3_GFX90A:TG_SPLIT: 0
	.section	.text._Z20warp_exchange_kernelILj256ELj1ELj32EN6common25BlockedToStripedShuffleOpEoEvPT3_j,"axG",@progbits,_Z20warp_exchange_kernelILj256ELj1ELj32EN6common25BlockedToStripedShuffleOpEoEvPT3_j,comdat
	.protected	_Z20warp_exchange_kernelILj256ELj1ELj32EN6common25BlockedToStripedShuffleOpEoEvPT3_j ; -- Begin function _Z20warp_exchange_kernelILj256ELj1ELj32EN6common25BlockedToStripedShuffleOpEoEvPT3_j
	.globl	_Z20warp_exchange_kernelILj256ELj1ELj32EN6common25BlockedToStripedShuffleOpEoEvPT3_j
	.p2align	8
	.type	_Z20warp_exchange_kernelILj256ELj1ELj32EN6common25BlockedToStripedShuffleOpEoEvPT3_j,@function
_Z20warp_exchange_kernelILj256ELj1ELj32EN6common25BlockedToStripedShuffleOpEoEvPT3_j: ; @_Z20warp_exchange_kernelILj256ELj1ELj32EN6common25BlockedToStripedShuffleOpEoEvPT3_j
; %bb.0:
	s_load_dword s3, s[0:1], 0x8
	v_mov_b32_e32 v5, 0
	s_waitcnt lgkmcnt(0)
	s_cmp_eq_u32 s3, 0
	s_cbranch_scc1 .LBB77_3
; %bb.1:
	v_mbcnt_lo_u32_b32 v1, -1, 0
	v_mbcnt_hi_u32_b32 v1, -1, v1
	v_lshlrev_b32_e32 v1, 2, v1
	v_mov_b32_e32 v2, v0
	v_mov_b32_e32 v3, 0
	;; [unrolled: 1-line block ×3, first 2 shown]
.LBB77_2:                               ; =>This Inner Loop Header: Depth=1
	s_waitcnt lgkmcnt(3)
	ds_bpermute_b32 v2, v1, v2
	s_waitcnt lgkmcnt(3)
	ds_bpermute_b32 v3, v1, v3
	;; [unrolled: 2-line block ×4, first 2 shown]
	s_add_i32 s3, s3, -1
	s_cmp_lg_u32 s3, 0
	; wave barrier
	s_cbranch_scc1 .LBB77_2
	s_branch .LBB77_4
.LBB77_3:
	v_mov_b32_e32 v2, v0
	v_mov_b32_e32 v3, 0
	;; [unrolled: 1-line block ×3, first 2 shown]
.LBB77_4:
	s_load_dwordx2 s[0:1], s[0:1], 0x0
	v_lshl_or_b32 v0, s2, 8, v0
	v_mov_b32_e32 v1, 0
	s_waitcnt lgkmcnt(0)
	v_lshl_add_u64 v[0:1], v[0:1], 4, s[0:1]
	global_store_dwordx4 v[0:1], v[2:5], off
	s_endpgm
	.section	.rodata,"a",@progbits
	.p2align	6, 0x0
	.amdhsa_kernel _Z20warp_exchange_kernelILj256ELj1ELj32EN6common25BlockedToStripedShuffleOpEoEvPT3_j
		.amdhsa_group_segment_fixed_size 0
		.amdhsa_private_segment_fixed_size 0
		.amdhsa_kernarg_size 12
		.amdhsa_user_sgpr_count 2
		.amdhsa_user_sgpr_dispatch_ptr 0
		.amdhsa_user_sgpr_queue_ptr 0
		.amdhsa_user_sgpr_kernarg_segment_ptr 1
		.amdhsa_user_sgpr_dispatch_id 0
		.amdhsa_user_sgpr_kernarg_preload_length 0
		.amdhsa_user_sgpr_kernarg_preload_offset 0
		.amdhsa_user_sgpr_private_segment_size 0
		.amdhsa_uses_dynamic_stack 0
		.amdhsa_enable_private_segment 0
		.amdhsa_system_sgpr_workgroup_id_x 1
		.amdhsa_system_sgpr_workgroup_id_y 0
		.amdhsa_system_sgpr_workgroup_id_z 0
		.amdhsa_system_sgpr_workgroup_info 0
		.amdhsa_system_vgpr_workitem_id 0
		.amdhsa_next_free_vgpr 6
		.amdhsa_next_free_sgpr 4
		.amdhsa_accum_offset 8
		.amdhsa_reserve_vcc 0
		.amdhsa_float_round_mode_32 0
		.amdhsa_float_round_mode_16_64 0
		.amdhsa_float_denorm_mode_32 3
		.amdhsa_float_denorm_mode_16_64 3
		.amdhsa_dx10_clamp 1
		.amdhsa_ieee_mode 1
		.amdhsa_fp16_overflow 0
		.amdhsa_tg_split 0
		.amdhsa_exception_fp_ieee_invalid_op 0
		.amdhsa_exception_fp_denorm_src 0
		.amdhsa_exception_fp_ieee_div_zero 0
		.amdhsa_exception_fp_ieee_overflow 0
		.amdhsa_exception_fp_ieee_underflow 0
		.amdhsa_exception_fp_ieee_inexact 0
		.amdhsa_exception_int_div_zero 0
	.end_amdhsa_kernel
	.section	.text._Z20warp_exchange_kernelILj256ELj1ELj32EN6common25BlockedToStripedShuffleOpEoEvPT3_j,"axG",@progbits,_Z20warp_exchange_kernelILj256ELj1ELj32EN6common25BlockedToStripedShuffleOpEoEvPT3_j,comdat
.Lfunc_end77:
	.size	_Z20warp_exchange_kernelILj256ELj1ELj32EN6common25BlockedToStripedShuffleOpEoEvPT3_j, .Lfunc_end77-_Z20warp_exchange_kernelILj256ELj1ELj32EN6common25BlockedToStripedShuffleOpEoEvPT3_j
                                        ; -- End function
	.section	.AMDGPU.csdata,"",@progbits
; Kernel info:
; codeLenInByte = 176
; NumSgprs: 10
; NumVgprs: 6
; NumAgprs: 0
; TotalNumVgprs: 6
; ScratchSize: 0
; MemoryBound: 0
; FloatMode: 240
; IeeeMode: 1
; LDSByteSize: 0 bytes/workgroup (compile time only)
; SGPRBlocks: 1
; VGPRBlocks: 0
; NumSGPRsForWavesPerEU: 10
; NumVGPRsForWavesPerEU: 6
; AccumOffset: 8
; Occupancy: 8
; WaveLimiterHint : 0
; COMPUTE_PGM_RSRC2:SCRATCH_EN: 0
; COMPUTE_PGM_RSRC2:USER_SGPR: 2
; COMPUTE_PGM_RSRC2:TRAP_HANDLER: 0
; COMPUTE_PGM_RSRC2:TGID_X_EN: 1
; COMPUTE_PGM_RSRC2:TGID_Y_EN: 0
; COMPUTE_PGM_RSRC2:TGID_Z_EN: 0
; COMPUTE_PGM_RSRC2:TIDIG_COMP_CNT: 0
; COMPUTE_PGM_RSRC3_GFX90A:ACCUM_OFFSET: 1
; COMPUTE_PGM_RSRC3_GFX90A:TG_SPLIT: 0
	.section	.text._Z20warp_exchange_kernelILj256ELj4ELj16EN6common25BlockedToStripedShuffleOpEoEvPT3_j,"axG",@progbits,_Z20warp_exchange_kernelILj256ELj4ELj16EN6common25BlockedToStripedShuffleOpEoEvPT3_j,comdat
	.protected	_Z20warp_exchange_kernelILj256ELj4ELj16EN6common25BlockedToStripedShuffleOpEoEvPT3_j ; -- Begin function _Z20warp_exchange_kernelILj256ELj4ELj16EN6common25BlockedToStripedShuffleOpEoEvPT3_j
	.globl	_Z20warp_exchange_kernelILj256ELj4ELj16EN6common25BlockedToStripedShuffleOpEoEvPT3_j
	.p2align	8
	.type	_Z20warp_exchange_kernelILj256ELj4ELj16EN6common25BlockedToStripedShuffleOpEoEvPT3_j,@function
_Z20warp_exchange_kernelILj256ELj4ELj16EN6common25BlockedToStripedShuffleOpEoEvPT3_j: ; @_Z20warp_exchange_kernelILj256ELj4ELj16EN6common25BlockedToStripedShuffleOpEoEvPT3_j
; %bb.0:
	s_load_dword s3, s[0:1], 0x8
	v_lshlrev_b32_e32 v16, 2, v0
	v_or_b32_e32 v12, 1, v16
	v_or_b32_e32 v8, 2, v16
	;; [unrolled: 1-line block ×3, first 2 shown]
	s_waitcnt lgkmcnt(0)
	s_cmp_eq_u32 s3, 0
	v_mov_b32_e32 v17, 0
	s_cbranch_scc1 .LBB78_4
; %bb.1:
	v_mbcnt_lo_u32_b32 v0, -1, 0
	v_mbcnt_hi_u32_b32 v0, -1, v0
	v_and_b32_e32 v1, 3, v0
	v_add_u32_e32 v5, -1, v0
	v_xor_b32_e32 v7, 2, v1
	v_and_b32_e32 v6, 3, v5
	v_add_u32_e32 v5, -1, v7
	v_lshlrev_b32_e32 v11, 2, v0
	v_and_b32_e32 v9, 3, v5
	v_and_b32_e32 v10, 0x70, v0
	v_add_u32_e32 v5, 12, v0
	v_xor_b32_e32 v18, 32, v11
	v_add_u32_e32 v11, 4, v0
	v_and_or_b32 v5, v5, 15, v10
	v_and_or_b32 v10, v11, 15, v10
	v_lshlrev_b32_e32 v19, 2, v10
	v_lshrrev_b32_e32 v10, 2, v0
	v_bfe_u32 v0, v0, 2, 2
	v_xor_b32_e32 v11, 2, v0
	v_add_u32_e32 v10, -1, v10
	v_add_u32_e32 v13, -1, v11
	v_and_b32_e32 v10, 3, v10
	v_and_b32_e32 v13, 3, v13
	v_mov_b64_e32 v[2:3], 0
	v_lshlrev_b32_e32 v5, 2, v5
	v_cmp_eq_u32_e32 vcc, 1, v1
	v_cmp_eq_u32_e64 s[50:51], 2, v1
	v_cmp_eq_u32_e64 s[4:5], 3, v1
	;; [unrolled: 1-line block ×23, first 2 shown]
	v_mov_b32_e32 v6, v17
	v_mov_b32_e32 v7, v17
	;; [unrolled: 1-line block ×8, first 2 shown]
	v_mov_b64_e32 v[0:1], v[16:17]
.LBB78_2:                               ; =>This Inner Loop Header: Depth=1
	s_waitcnt lgkmcnt(10)
	v_mov_b32_dpp v13, v13 quad_perm:[3,0,1,2] row_mask:0xf bank_mask:0xf
	s_waitcnt lgkmcnt(8)
	v_mov_b32_dpp v15, v15 quad_perm:[3,0,1,2] row_mask:0xf bank_mask:0xf
	v_mov_b32_dpp v14, v14 quad_perm:[3,0,1,2] row_mask:0xf bank_mask:0xf
	s_waitcnt lgkmcnt(6)
	v_mov_b32_dpp v9, v9 quad_perm:[2,3,0,1] row_mask:0xf bank_mask:0xf
	s_waitcnt lgkmcnt(4)
	v_mov_b32_dpp v11, v11 quad_perm:[2,3,0,1] row_mask:0xf bank_mask:0xf
	v_cndmask_b32_e64 v24, v3, v15, s[6:7]
	v_cndmask_b32_e64 v26, v1, v13, s[6:7]
	v_mov_b32_dpp v12, v12 quad_perm:[3,0,1,2] row_mask:0xf bank_mask:0xf
	v_mov_b32_dpp v10, v10 quad_perm:[2,3,0,1] row_mask:0xf bank_mask:0xf
	s_waitcnt lgkmcnt(2)
	v_mov_b32_dpp v17, v17 quad_perm:[1,2,3,0] row_mask:0xf bank_mask:0xf
	s_waitcnt lgkmcnt(0)
	v_mov_b32_dpp v7, v7 quad_perm:[1,2,3,0] row_mask:0xf bank_mask:0xf
	v_cndmask_b32_e32 v20, v2, v14, vcc
	v_cndmask_b32_e64 v24, v24, v11, s[8:9]
	v_cndmask_b32_e64 v25, v2, v14, s[6:7]
	;; [unrolled: 1-line block ×7, first 2 shown]
	v_mov_b32_dpp v8, v8 quad_perm:[2,3,0,1] row_mask:0xf bank_mask:0xf
	v_mov_b32_dpp v6, v6 quad_perm:[1,2,3,0] row_mask:0xf bank_mask:0xf
	v_cndmask_b32_e64 v20, v20, v10, s[50:51]
	v_cndmask_b32_e32 v21, v3, v15, vcc
	v_cndmask_b32_e32 v22, v0, v12, vcc
	;; [unrolled: 1-line block ×3, first 2 shown]
	v_cndmask_b32_e64 v24, v24, v7, s[10:11]
	v_cndmask_b32_e64 v25, v25, v10, s[8:9]
	;; [unrolled: 1-line block ×12, first 2 shown]
	v_mov_b32_dpp v4, v4 quad_perm:[1,2,3,0] row_mask:0xf bank_mask:0xf
	v_cndmask_b32_e64 v20, v20, v6, s[4:5]
	v_cndmask_b32_e64 v22, v22, v8, s[50:51]
	;; [unrolled: 1-line block ×12, first 2 shown]
	v_mov_b32_dpp v6, v26 quad_perm:[1,2,3,0] row_mask:0xf bank_mask:0xf
	v_mov_b32_dpp v8, v24 quad_perm:[1,2,3,0] row_mask:0xf bank_mask:0xf
	v_cndmask_b32_e64 v21, v21, v11, s[50:51]
	v_cndmask_b32_e64 v27, v27, v4, s[10:11]
	;; [unrolled: 1-line block ×4, first 2 shown]
	v_mov_b32_dpp v10, v30 quad_perm:[2,3,0,1] row_mask:0xf bank_mask:0xf
	v_mov_b32_dpp v12, v28 quad_perm:[2,3,0,1] row_mask:0xf bank_mask:0xf
	ds_bpermute_b32 v6, v5, v6
	ds_bpermute_b32 v8, v5, v8
	v_cndmask_b32_e64 v21, v21, v7, s[4:5]
	v_cndmask_b32_e64 v22, v22, v4, s[4:5]
	;; [unrolled: 1-line block ×5, first 2 shown]
	v_mov_b32_dpp v4, v27 quad_perm:[1,2,3,0] row_mask:0xf bank_mask:0xf
	v_mov_b32_dpp v7, v25 quad_perm:[1,2,3,0] row_mask:0xf bank_mask:0xf
	;; [unrolled: 1-line block ×4, first 2 shown]
	ds_bpermute_b32 v10, v18, v10
	ds_bpermute_b32 v12, v18, v12
	v_cndmask_b32_e64 v23, v23, v17, s[4:5]
	v_mov_b32_dpp v9, v31 quad_perm:[2,3,0,1] row_mask:0xf bank_mask:0xf
	v_mov_b32_dpp v11, v29 quad_perm:[2,3,0,1] row_mask:0xf bank_mask:0xf
	ds_bpermute_b32 v4, v5, v4
	ds_bpermute_b32 v7, v5, v7
	;; [unrolled: 1-line block ×4, first 2 shown]
	v_mov_b32_dpp v0, v0 quad_perm:[3,0,1,2] row_mask:0xf bank_mask:0xf
	v_mov_b32_dpp v2, v2 quad_perm:[3,0,1,2] row_mask:0xf bank_mask:0xf
	ds_bpermute_b32 v9, v18, v9
	ds_bpermute_b32 v11, v18, v11
	;; [unrolled: 1-line block ×4, first 2 shown]
	s_waitcnt lgkmcnt(11)
	v_cndmask_b32_e64 v0, v23, v6, s[24:25]
	s_waitcnt lgkmcnt(10)
	v_cndmask_b32_e64 v2, v21, v8, s[24:25]
	;; [unrolled: 2-line block ×5, first 2 shown]
	v_cndmask_b32_e64 v0, v22, v4, s[24:25]
	s_waitcnt lgkmcnt(4)
	v_cndmask_b32_e64 v3, v2, v17, s[28:29]
	v_cndmask_b32_e64 v2, v20, v7, s[24:25]
	;; [unrolled: 1-line block ×15, first 2 shown]
	s_waitcnt lgkmcnt(2)
	v_cndmask_b32_e64 v25, v25, v11, s[34:35]
	v_cndmask_b32_e64 v26, v26, v10, s[34:35]
	;; [unrolled: 1-line block ×14, first 2 shown]
	s_waitcnt lgkmcnt(0)
	v_cndmask_b32_e64 v25, v25, v15, s[36:37]
	v_cndmask_b32_e64 v26, v26, v14, s[36:37]
	;; [unrolled: 1-line block ×13, first 2 shown]
	ds_bpermute_b32 v12, v19, v27
	ds_bpermute_b32 v13, v19, v26
	;; [unrolled: 1-line block ×12, first 2 shown]
	s_add_i32 s3, s3, -1
	s_cmp_eq_u32 s3, 0
	; wave barrier
	s_cbranch_scc0 .LBB78_2
; %bb.3:
	s_waitcnt lgkmcnt(2)
	v_mov_b32_e32 v5, v17
	s_branch .LBB78_5
.LBB78_4:
	v_mov_b64_e32 v[6:7], 0
	v_mov_b64_e32 v[2:3], 0
	v_mov_b32_e32 v13, v17
	v_mov_b32_e32 v9, v17
	;; [unrolled: 1-line block ×3, first 2 shown]
	v_mov_b64_e32 v[0:1], v[16:17]
	v_mov_b64_e32 v[14:15], 0
	;; [unrolled: 1-line block ×3, first 2 shown]
.LBB78_5:
	s_load_dwordx2 s[0:1], s[0:1], 0x0
	v_lshl_or_b32 v16, s2, 10, v16
	v_mov_b32_e32 v17, 0
	s_waitcnt lgkmcnt(0)
	v_lshl_add_u64 v[16:17], v[16:17], 4, s[0:1]
	global_store_dwordx4 v[16:17], v[0:3], off
	global_store_dwordx4 v[16:17], v[12:15], off offset:16
	global_store_dwordx4 v[16:17], v[8:11], off offset:32
	;; [unrolled: 1-line block ×3, first 2 shown]
	s_endpgm
	.section	.rodata,"a",@progbits
	.p2align	6, 0x0
	.amdhsa_kernel _Z20warp_exchange_kernelILj256ELj4ELj16EN6common25BlockedToStripedShuffleOpEoEvPT3_j
		.amdhsa_group_segment_fixed_size 0
		.amdhsa_private_segment_fixed_size 0
		.amdhsa_kernarg_size 12
		.amdhsa_user_sgpr_count 2
		.amdhsa_user_sgpr_dispatch_ptr 0
		.amdhsa_user_sgpr_queue_ptr 0
		.amdhsa_user_sgpr_kernarg_segment_ptr 1
		.amdhsa_user_sgpr_dispatch_id 0
		.amdhsa_user_sgpr_kernarg_preload_length 0
		.amdhsa_user_sgpr_kernarg_preload_offset 0
		.amdhsa_user_sgpr_private_segment_size 0
		.amdhsa_uses_dynamic_stack 0
		.amdhsa_enable_private_segment 0
		.amdhsa_system_sgpr_workgroup_id_x 1
		.amdhsa_system_sgpr_workgroup_id_y 0
		.amdhsa_system_sgpr_workgroup_id_z 0
		.amdhsa_system_sgpr_workgroup_info 0
		.amdhsa_system_vgpr_workitem_id 0
		.amdhsa_next_free_vgpr 32
		.amdhsa_next_free_sgpr 52
		.amdhsa_accum_offset 32
		.amdhsa_reserve_vcc 1
		.amdhsa_float_round_mode_32 0
		.amdhsa_float_round_mode_16_64 0
		.amdhsa_float_denorm_mode_32 3
		.amdhsa_float_denorm_mode_16_64 3
		.amdhsa_dx10_clamp 1
		.amdhsa_ieee_mode 1
		.amdhsa_fp16_overflow 0
		.amdhsa_tg_split 0
		.amdhsa_exception_fp_ieee_invalid_op 0
		.amdhsa_exception_fp_denorm_src 0
		.amdhsa_exception_fp_ieee_div_zero 0
		.amdhsa_exception_fp_ieee_overflow 0
		.amdhsa_exception_fp_ieee_underflow 0
		.amdhsa_exception_fp_ieee_inexact 0
		.amdhsa_exception_int_div_zero 0
	.end_amdhsa_kernel
	.section	.text._Z20warp_exchange_kernelILj256ELj4ELj16EN6common25BlockedToStripedShuffleOpEoEvPT3_j,"axG",@progbits,_Z20warp_exchange_kernelILj256ELj4ELj16EN6common25BlockedToStripedShuffleOpEoEvPT3_j,comdat
.Lfunc_end78:
	.size	_Z20warp_exchange_kernelILj256ELj4ELj16EN6common25BlockedToStripedShuffleOpEoEvPT3_j, .Lfunc_end78-_Z20warp_exchange_kernelILj256ELj4ELj16EN6common25BlockedToStripedShuffleOpEoEvPT3_j
                                        ; -- End function
	.section	.AMDGPU.csdata,"",@progbits
; Kernel info:
; codeLenInByte = 1704
; NumSgprs: 58
; NumVgprs: 32
; NumAgprs: 0
; TotalNumVgprs: 32
; ScratchSize: 0
; MemoryBound: 0
; FloatMode: 240
; IeeeMode: 1
; LDSByteSize: 0 bytes/workgroup (compile time only)
; SGPRBlocks: 7
; VGPRBlocks: 3
; NumSGPRsForWavesPerEU: 58
; NumVGPRsForWavesPerEU: 32
; AccumOffset: 32
; Occupancy: 8
; WaveLimiterHint : 0
; COMPUTE_PGM_RSRC2:SCRATCH_EN: 0
; COMPUTE_PGM_RSRC2:USER_SGPR: 2
; COMPUTE_PGM_RSRC2:TRAP_HANDLER: 0
; COMPUTE_PGM_RSRC2:TGID_X_EN: 1
; COMPUTE_PGM_RSRC2:TGID_Y_EN: 0
; COMPUTE_PGM_RSRC2:TGID_Z_EN: 0
; COMPUTE_PGM_RSRC2:TIDIG_COMP_CNT: 0
; COMPUTE_PGM_RSRC3_GFX90A:ACCUM_OFFSET: 7
; COMPUTE_PGM_RSRC3_GFX90A:TG_SPLIT: 0
	.section	.text._Z20warp_exchange_kernelILj256ELj4ELj32EN6common25BlockedToStripedShuffleOpEoEvPT3_j,"axG",@progbits,_Z20warp_exchange_kernelILj256ELj4ELj32EN6common25BlockedToStripedShuffleOpEoEvPT3_j,comdat
	.protected	_Z20warp_exchange_kernelILj256ELj4ELj32EN6common25BlockedToStripedShuffleOpEoEvPT3_j ; -- Begin function _Z20warp_exchange_kernelILj256ELj4ELj32EN6common25BlockedToStripedShuffleOpEoEvPT3_j
	.globl	_Z20warp_exchange_kernelILj256ELj4ELj32EN6common25BlockedToStripedShuffleOpEoEvPT3_j
	.p2align	8
	.type	_Z20warp_exchange_kernelILj256ELj4ELj32EN6common25BlockedToStripedShuffleOpEoEvPT3_j,@function
_Z20warp_exchange_kernelILj256ELj4ELj32EN6common25BlockedToStripedShuffleOpEoEvPT3_j: ; @_Z20warp_exchange_kernelILj256ELj4ELj32EN6common25BlockedToStripedShuffleOpEoEvPT3_j
; %bb.0:
	s_load_dword s3, s[0:1], 0x8
	v_lshlrev_b32_e32 v16, 2, v0
	v_mov_b32_e32 v17, 0
	v_or_b32_e32 v22, 1, v16
	v_or_b32_e32 v20, 2, v16
	s_waitcnt lgkmcnt(0)
	s_cmp_eq_u32 s3, 0
	v_or_b32_e32 v18, 3, v16
	s_cbranch_scc1 .LBB79_27
; %bb.1:
	v_mbcnt_lo_u32_b32 v0, -1, 0
	v_mbcnt_hi_u32_b32 v0, -1, v0
	v_and_b32_e32 v1, 3, v0
	v_lshlrev_b32_e32 v2, 2, v0
	v_and_b32_e32 v0, 28, v0
	s_movk_i32 s4, 0x180
	v_and_or_b32 v26, v2, s4, v0
	v_cmp_eq_u32_e32 vcc, 0, v1
	v_cmp_eq_u32_e64 s[8:9], 1, v1
	v_cmp_eq_u32_e64 s[4:5], 2, v1
	v_cmp_eq_u32_e64 s[6:7], 3, v1
	v_or_b32_e32 v27, 32, v26
	v_or_b32_e32 v28, 64, v26
	;; [unrolled: 1-line block ×3, first 2 shown]
	v_mov_b32_e32 v30, 0
	v_mov_b32_e32 v31, 0
	v_mov_b32_e32 v19, 0
	v_mov_b32_e32 v32, 0
	v_mov_b32_e32 v33, 0
	v_mov_b32_e32 v21, 0
	v_mov_b32_e32 v24, 0
	v_mov_b32_e32 v25, 0
	v_mov_b32_e32 v23, v16
	v_mov_b32_e32 v34, 0
	v_mov_b32_e32 v35, 0
	v_mov_b32_e32 v36, 0
	s_branch .LBB79_3
.LBB79_2:                               ;   in Loop: Header=BB79_3 Depth=1
	s_or_b64 exec, exec, s[10:11]
	s_add_i32 s3, s3, -1
	s_cmp_lg_u32 s3, 0
	s_waitcnt lgkmcnt(3)
	v_mov_b32_e32 v18, v12
	v_mov_b32_e32 v17, v13
	v_mov_b32_e32 v30, v14
	v_mov_b32_e32 v31, v15
	s_waitcnt lgkmcnt(1)
	v_mov_b32_e32 v20, v8
	v_mov_b32_e32 v19, v9
	;; [unrolled: 1-line block ×5, first 2 shown]
	s_waitcnt lgkmcnt(0)
	v_mov_b32_e32 v21, v5
	v_mov_b32_e32 v24, v6
	;; [unrolled: 1-line block ×7, first 2 shown]
	; wave barrier
	s_cbranch_scc0 .LBB79_28
.LBB79_3:                               ; =>This Inner Loop Header: Depth=1
	ds_bpermute_b32 v0, v26, v23
	ds_bpermute_b32 v1, v26, v34
	;; [unrolled: 1-line block ×4, first 2 shown]
	s_and_saveexec_b64 s[10:11], vcc
	s_or_b64 exec, exec, s[10:11]
	ds_bpermute_b32 v4, v26, v22
	ds_bpermute_b32 v5, v26, v21
	;; [unrolled: 1-line block ×4, first 2 shown]
	s_and_saveexec_b64 s[10:11], s[8:9]
	s_cbranch_execz .LBB79_5
; %bb.4:                                ;   in Loop: Header=BB79_3 Depth=1
	s_waitcnt lgkmcnt(2)
	v_mov_b64_e32 v[0:1], v[4:5]
	s_waitcnt lgkmcnt(0)
	v_mov_b64_e32 v[2:3], v[6:7]
.LBB79_5:                               ;   in Loop: Header=BB79_3 Depth=1
	s_or_b64 exec, exec, s[10:11]
	s_waitcnt lgkmcnt(3)
	ds_bpermute_b32 v4, v26, v20
	s_waitcnt lgkmcnt(3)
	ds_bpermute_b32 v5, v26, v19
	s_waitcnt lgkmcnt(3)
	ds_bpermute_b32 v6, v26, v32
	s_waitcnt lgkmcnt(3)
	ds_bpermute_b32 v7, v26, v33
	s_and_saveexec_b64 s[10:11], s[4:5]
	s_cbranch_execz .LBB79_7
; %bb.6:                                ;   in Loop: Header=BB79_3 Depth=1
	s_waitcnt lgkmcnt(2)
	v_mov_b64_e32 v[0:1], v[4:5]
	s_waitcnt lgkmcnt(0)
	v_mov_b64_e32 v[2:3], v[6:7]
.LBB79_7:                               ;   in Loop: Header=BB79_3 Depth=1
	s_or_b64 exec, exec, s[10:11]
	s_waitcnt lgkmcnt(3)
	ds_bpermute_b32 v4, v26, v18
	s_waitcnt lgkmcnt(3)
	ds_bpermute_b32 v5, v26, v17
	s_waitcnt lgkmcnt(3)
	ds_bpermute_b32 v6, v26, v30
	s_waitcnt lgkmcnt(3)
	ds_bpermute_b32 v7, v26, v31
	;; [unrolled: 17-line block ×3, first 2 shown]
	s_and_saveexec_b64 s[10:11], vcc
	s_or_b64 exec, exec, s[10:11]
	ds_bpermute_b32 v8, v27, v22
	ds_bpermute_b32 v9, v27, v21
	;; [unrolled: 1-line block ×4, first 2 shown]
	s_and_saveexec_b64 s[10:11], s[8:9]
	s_cbranch_execz .LBB79_11
; %bb.10:                               ;   in Loop: Header=BB79_3 Depth=1
	s_waitcnt lgkmcnt(2)
	v_mov_b64_e32 v[4:5], v[8:9]
	s_waitcnt lgkmcnt(0)
	v_mov_b64_e32 v[6:7], v[10:11]
.LBB79_11:                              ;   in Loop: Header=BB79_3 Depth=1
	s_or_b64 exec, exec, s[10:11]
	s_waitcnt lgkmcnt(3)
	ds_bpermute_b32 v8, v27, v20
	s_waitcnt lgkmcnt(3)
	ds_bpermute_b32 v9, v27, v19
	s_waitcnt lgkmcnt(3)
	ds_bpermute_b32 v10, v27, v32
	s_waitcnt lgkmcnt(3)
	ds_bpermute_b32 v11, v27, v33
	s_and_saveexec_b64 s[10:11], s[4:5]
	s_cbranch_execz .LBB79_13
; %bb.12:                               ;   in Loop: Header=BB79_3 Depth=1
	s_waitcnt lgkmcnt(2)
	v_mov_b64_e32 v[4:5], v[8:9]
	s_waitcnt lgkmcnt(0)
	v_mov_b64_e32 v[6:7], v[10:11]
.LBB79_13:                              ;   in Loop: Header=BB79_3 Depth=1
	s_or_b64 exec, exec, s[10:11]
	s_waitcnt lgkmcnt(3)
	ds_bpermute_b32 v8, v27, v18
	s_waitcnt lgkmcnt(3)
	ds_bpermute_b32 v9, v27, v17
	s_waitcnt lgkmcnt(3)
	ds_bpermute_b32 v10, v27, v30
	s_waitcnt lgkmcnt(3)
	ds_bpermute_b32 v11, v27, v31
	;; [unrolled: 17-line block ×3, first 2 shown]
	s_and_saveexec_b64 s[10:11], vcc
	s_or_b64 exec, exec, s[10:11]
	ds_bpermute_b32 v12, v28, v22
	ds_bpermute_b32 v13, v28, v21
	;; [unrolled: 1-line block ×4, first 2 shown]
	s_and_saveexec_b64 s[10:11], s[8:9]
	s_cbranch_execz .LBB79_17
; %bb.16:                               ;   in Loop: Header=BB79_3 Depth=1
	s_waitcnt lgkmcnt(2)
	v_mov_b64_e32 v[8:9], v[12:13]
	s_waitcnt lgkmcnt(0)
	v_mov_b64_e32 v[10:11], v[14:15]
.LBB79_17:                              ;   in Loop: Header=BB79_3 Depth=1
	s_or_b64 exec, exec, s[10:11]
	s_waitcnt lgkmcnt(3)
	ds_bpermute_b32 v12, v28, v20
	s_waitcnt lgkmcnt(3)
	ds_bpermute_b32 v13, v28, v19
	s_waitcnt lgkmcnt(3)
	ds_bpermute_b32 v14, v28, v32
	s_waitcnt lgkmcnt(3)
	ds_bpermute_b32 v15, v28, v33
	s_and_saveexec_b64 s[10:11], s[4:5]
	s_cbranch_execz .LBB79_19
; %bb.18:                               ;   in Loop: Header=BB79_3 Depth=1
	s_waitcnt lgkmcnt(2)
	v_mov_b64_e32 v[8:9], v[12:13]
	s_waitcnt lgkmcnt(0)
	v_mov_b64_e32 v[10:11], v[14:15]
.LBB79_19:                              ;   in Loop: Header=BB79_3 Depth=1
	s_or_b64 exec, exec, s[10:11]
	s_waitcnt lgkmcnt(3)
	ds_bpermute_b32 v12, v28, v18
	s_waitcnt lgkmcnt(3)
	ds_bpermute_b32 v13, v28, v17
	s_waitcnt lgkmcnt(3)
	ds_bpermute_b32 v14, v28, v30
	s_waitcnt lgkmcnt(3)
	ds_bpermute_b32 v15, v28, v31
	;; [unrolled: 17-line block ×3, first 2 shown]
	s_and_saveexec_b64 s[10:11], vcc
	s_or_b64 exec, exec, s[10:11]
	ds_bpermute_b32 v22, v29, v22
	ds_bpermute_b32 v23, v29, v21
	;; [unrolled: 1-line block ×4, first 2 shown]
	s_and_saveexec_b64 s[10:11], s[8:9]
	s_cbranch_execz .LBB79_23
; %bb.22:                               ;   in Loop: Header=BB79_3 Depth=1
	s_waitcnt lgkmcnt(2)
	v_mov_b64_e32 v[12:13], v[22:23]
	s_waitcnt lgkmcnt(0)
	v_mov_b64_e32 v[14:15], v[24:25]
.LBB79_23:                              ;   in Loop: Header=BB79_3 Depth=1
	s_or_b64 exec, exec, s[10:11]
	ds_bpermute_b32 v20, v29, v20
	ds_bpermute_b32 v21, v29, v19
	s_waitcnt lgkmcnt(5)
	ds_bpermute_b32 v22, v29, v32
	s_waitcnt lgkmcnt(5)
	ds_bpermute_b32 v23, v29, v33
	s_and_saveexec_b64 s[10:11], s[4:5]
	s_cbranch_execz .LBB79_25
; %bb.24:                               ;   in Loop: Header=BB79_3 Depth=1
	s_waitcnt lgkmcnt(2)
	v_mov_b64_e32 v[12:13], v[20:21]
	s_waitcnt lgkmcnt(0)
	v_mov_b64_e32 v[14:15], v[22:23]
.LBB79_25:                              ;   in Loop: Header=BB79_3 Depth=1
	s_or_b64 exec, exec, s[10:11]
	ds_bpermute_b32 v18, v29, v18
	ds_bpermute_b32 v19, v29, v17
	s_waitcnt lgkmcnt(5)
	ds_bpermute_b32 v20, v29, v30
	s_waitcnt lgkmcnt(5)
	ds_bpermute_b32 v21, v29, v31
	s_and_saveexec_b64 s[10:11], s[6:7]
	s_cbranch_execz .LBB79_2
; %bb.26:                               ;   in Loop: Header=BB79_3 Depth=1
	s_waitcnt lgkmcnt(2)
	v_mov_b64_e32 v[12:13], v[18:19]
	s_waitcnt lgkmcnt(0)
	v_mov_b64_e32 v[14:15], v[20:21]
	s_branch .LBB79_2
.LBB79_27:
	v_mov_b64_e32 v[2:3], 0
	v_mov_b32_e32 v23, v17
	v_mov_b32_e32 v21, v17
	;; [unrolled: 1-line block ×3, first 2 shown]
	v_mov_b64_e32 v[14:15], 0
	v_mov_b64_e32 v[0:1], v[16:17]
	;; [unrolled: 1-line block ×7, first 2 shown]
.LBB79_28:
	s_load_dwordx2 s[0:1], s[0:1], 0x0
	v_lshl_or_b32 v16, s2, 10, v16
	v_mov_b32_e32 v17, 0
	s_waitcnt lgkmcnt(0)
	v_lshl_add_u64 v[16:17], v[16:17], 4, s[0:1]
	global_store_dwordx4 v[16:17], v[0:3], off
	global_store_dwordx4 v[16:17], v[4:7], off offset:16
	global_store_dwordx4 v[16:17], v[8:11], off offset:32
	;; [unrolled: 1-line block ×3, first 2 shown]
	s_endpgm
	.section	.rodata,"a",@progbits
	.p2align	6, 0x0
	.amdhsa_kernel _Z20warp_exchange_kernelILj256ELj4ELj32EN6common25BlockedToStripedShuffleOpEoEvPT3_j
		.amdhsa_group_segment_fixed_size 0
		.amdhsa_private_segment_fixed_size 0
		.amdhsa_kernarg_size 12
		.amdhsa_user_sgpr_count 2
		.amdhsa_user_sgpr_dispatch_ptr 0
		.amdhsa_user_sgpr_queue_ptr 0
		.amdhsa_user_sgpr_kernarg_segment_ptr 1
		.amdhsa_user_sgpr_dispatch_id 0
		.amdhsa_user_sgpr_kernarg_preload_length 0
		.amdhsa_user_sgpr_kernarg_preload_offset 0
		.amdhsa_user_sgpr_private_segment_size 0
		.amdhsa_uses_dynamic_stack 0
		.amdhsa_enable_private_segment 0
		.amdhsa_system_sgpr_workgroup_id_x 1
		.amdhsa_system_sgpr_workgroup_id_y 0
		.amdhsa_system_sgpr_workgroup_id_z 0
		.amdhsa_system_sgpr_workgroup_info 0
		.amdhsa_system_vgpr_workitem_id 0
		.amdhsa_next_free_vgpr 37
		.amdhsa_next_free_sgpr 12
		.amdhsa_accum_offset 40
		.amdhsa_reserve_vcc 1
		.amdhsa_float_round_mode_32 0
		.amdhsa_float_round_mode_16_64 0
		.amdhsa_float_denorm_mode_32 3
		.amdhsa_float_denorm_mode_16_64 3
		.amdhsa_dx10_clamp 1
		.amdhsa_ieee_mode 1
		.amdhsa_fp16_overflow 0
		.amdhsa_tg_split 0
		.amdhsa_exception_fp_ieee_invalid_op 0
		.amdhsa_exception_fp_denorm_src 0
		.amdhsa_exception_fp_ieee_div_zero 0
		.amdhsa_exception_fp_ieee_overflow 0
		.amdhsa_exception_fp_ieee_underflow 0
		.amdhsa_exception_fp_ieee_inexact 0
		.amdhsa_exception_int_div_zero 0
	.end_amdhsa_kernel
	.section	.text._Z20warp_exchange_kernelILj256ELj4ELj32EN6common25BlockedToStripedShuffleOpEoEvPT3_j,"axG",@progbits,_Z20warp_exchange_kernelILj256ELj4ELj32EN6common25BlockedToStripedShuffleOpEoEvPT3_j,comdat
.Lfunc_end79:
	.size	_Z20warp_exchange_kernelILj256ELj4ELj32EN6common25BlockedToStripedShuffleOpEoEvPT3_j, .Lfunc_end79-_Z20warp_exchange_kernelILj256ELj4ELj32EN6common25BlockedToStripedShuffleOpEoEvPT3_j
                                        ; -- End function
	.section	.AMDGPU.csdata,"",@progbits
; Kernel info:
; codeLenInByte = 1420
; NumSgprs: 18
; NumVgprs: 37
; NumAgprs: 0
; TotalNumVgprs: 37
; ScratchSize: 0
; MemoryBound: 0
; FloatMode: 240
; IeeeMode: 1
; LDSByteSize: 0 bytes/workgroup (compile time only)
; SGPRBlocks: 2
; VGPRBlocks: 4
; NumSGPRsForWavesPerEU: 18
; NumVGPRsForWavesPerEU: 37
; AccumOffset: 40
; Occupancy: 8
; WaveLimiterHint : 0
; COMPUTE_PGM_RSRC2:SCRATCH_EN: 0
; COMPUTE_PGM_RSRC2:USER_SGPR: 2
; COMPUTE_PGM_RSRC2:TRAP_HANDLER: 0
; COMPUTE_PGM_RSRC2:TGID_X_EN: 1
; COMPUTE_PGM_RSRC2:TGID_Y_EN: 0
; COMPUTE_PGM_RSRC2:TGID_Z_EN: 0
; COMPUTE_PGM_RSRC2:TIDIG_COMP_CNT: 0
; COMPUTE_PGM_RSRC3_GFX90A:ACCUM_OFFSET: 9
; COMPUTE_PGM_RSRC3_GFX90A:TG_SPLIT: 0
	.section	.text._Z20warp_exchange_kernelILj256ELj16ELj16EN6common25BlockedToStripedShuffleOpEoEvPT3_j,"axG",@progbits,_Z20warp_exchange_kernelILj256ELj16ELj16EN6common25BlockedToStripedShuffleOpEoEvPT3_j,comdat
	.protected	_Z20warp_exchange_kernelILj256ELj16ELj16EN6common25BlockedToStripedShuffleOpEoEvPT3_j ; -- Begin function _Z20warp_exchange_kernelILj256ELj16ELj16EN6common25BlockedToStripedShuffleOpEoEvPT3_j
	.globl	_Z20warp_exchange_kernelILj256ELj16ELj16EN6common25BlockedToStripedShuffleOpEoEvPT3_j
	.p2align	8
	.type	_Z20warp_exchange_kernelILj256ELj16ELj16EN6common25BlockedToStripedShuffleOpEoEvPT3_j,@function
_Z20warp_exchange_kernelILj256ELj16ELj16EN6common25BlockedToStripedShuffleOpEoEvPT3_j: ; @_Z20warp_exchange_kernelILj256ELj16ELj16EN6common25BlockedToStripedShuffleOpEoEvPT3_j
; %bb.0:
	s_load_dword s3, s[0:1], 0x8
	v_lshlrev_b32_e32 v64, 4, v0
	v_or_b32_e32 v56, 1, v64
	v_or_b32_e32 v52, 2, v64
	;; [unrolled: 1-line block ×14, first 2 shown]
	s_waitcnt lgkmcnt(0)
	s_cmp_eq_u32 s3, 0
	v_or_b32_e32 v0, 15, v64
	s_cbranch_scc1 .LBB80_3
; %bb.1:
	v_mbcnt_lo_u32_b32 v6, -1, 0
	v_mbcnt_hi_u32_b32 v6, -1, v6
	v_and_b32_e32 v7, 8, v6
	v_lshlrev_b32_e32 v10, 4, v7
	v_xor_b32_e32 v10, 0x80, v10
	v_and_b32_e32 v29, 4, v6
	v_mov_b32_e32 v11, 0
	v_add_u32_e32 v66, 0, v10
	v_mov_b32_e32 v10, 0x90
	v_cmp_eq_u32_e32 vcc, 0, v7
	v_mov_b32_e32 v7, 0xa0
	v_mov_b32_e32 v14, 0xb0
	;; [unrolled: 1-line block ×9, first 2 shown]
	v_lshlrev_b32_e32 v30, 4, v29
	v_mov_b32_e32 v1, 0
	v_cndmask_b32_e32 v67, 16, v10, vcc
	v_cndmask_b32_e32 v68, 32, v7, vcc
	;; [unrolled: 1-line block ×7, first 2 shown]
	v_xad_u32 v74, v30, 64, v11
	v_cmp_eq_u32_e32 vcc, 0, v29
	v_mov_b32_e32 v29, 0x80
	v_and_b32_e32 v30, 2, v6
	v_and_b32_e32 v6, 1, v6
	v_mov_b64_e32 v[2:3], 0
	v_mov_b32_e32 v65, v1
	v_cndmask_b32_e32 v75, 16, v18, vcc
	v_cndmask_b32_e32 v76, 32, v22, vcc
	v_cndmask_b32_e32 v77, 48, v26, vcc
	v_cndmask_b32_e32 v78, v29, v15, vcc
	v_cndmask_b32_e32 v79, v10, v19, vcc
	v_cndmask_b32_e32 v80, v7, v23, vcc
	v_cndmask_b32_e32 v81, v14, v27, vcc
	v_lshlrev_b32_e32 v31, 4, v30
	v_cmp_eq_u32_e32 vcc, 0, v30
	v_lshlrev_b32_e32 v30, 4, v6
	v_cmp_eq_u32_e64 s[4:5], 0, v6
	v_mov_b32_e32 v5, v1
	v_mov_b32_e32 v9, v1
	;; [unrolled: 1-line block ×7, first 2 shown]
	v_xad_u32 v82, v31, 32, v11
	v_cndmask_b32_e32 v83, 64, v22, vcc
	v_cndmask_b32_e32 v84, v18, v26, vcc
	v_xad_u32 v85, v30, 16, v11
	v_cndmask_b32_e32 v86, v29, v7, vcc
	v_cndmask_b32_e64 v87, v22, v26, s[4:5]
	v_cndmask_b32_e32 v88, v10, v14, vcc
	v_cndmask_b32_e64 v89, v29, v10, s[4:5]
	;; [unrolled: 2-line block ×4, first 2 shown]
	v_cndmask_b32_e64 v94, v15, v19, s[4:5]
	v_cndmask_b32_e64 v95, v23, v27, s[4:5]
	v_mov_b64_e32 v[6:7], v[2:3]
	v_mov_b64_e32 v[10:11], v[2:3]
	;; [unrolled: 1-line block ×7, first 2 shown]
	v_mov_b32_e32 v29, v1
	v_mov_b64_e32 v[30:31], v[2:3]
	v_mov_b32_e32 v33, v1
	v_mov_b64_e32 v[34:35], v[2:3]
	;; [unrolled: 2-line block ×7, first 2 shown]
	v_mov_b64_e32 v[62:63], 0
	v_mov_b64_e32 v[60:61], v[64:65]
	v_cndmask_b32_e64 v65, 16, 48, vcc
	v_cndmask_b32_e64 v96, 32, 48, s[4:5]
.LBB80_2:                               ; =>This Inner Loop Header: Depth=1
	s_waitcnt vmcnt(13)
	scratch_store_dwordx4 off, v[60:63], off
	s_waitcnt vmcnt(13)
	scratch_store_dwordx4 off, v[56:59], off offset:16
	s_waitcnt vmcnt(13)
	scratch_store_dwordx4 off, v[52:55], off offset:32
	scratch_store_dwordx4 off, v[44:47], off offset:48
	scratch_store_dwordx4 off, v[48:51], off offset:64
	scratch_store_dwordx4 off, v[40:43], off offset:80
	scratch_store_dwordx4 off, v[32:35], off offset:96
	scratch_store_dwordx4 off, v[28:31], off offset:112
	s_waitcnt vmcnt(18)
	scratch_store_dwordx4 off, v[36:39], off offset:128
	scratch_load_dwordx4 v[28:31], v66, off
	s_add_i32 s3, s3, -1
	s_waitcnt vmcnt(19)
	scratch_store_dwordx4 off, v[24:27], off offset:144
	s_waitcnt vmcnt(18)
	scratch_store_dwordx4 off, v[20:23], off offset:160
	;; [unrolled: 2-line block ×5, first 2 shown]
	s_cmp_lg_u32 s3, 0
	s_waitcnt vmcnt(5)
	ds_swizzle_b32 v24, v28 offset:swizzle(SWAP,8)
	ds_swizzle_b32 v25, v29 offset:swizzle(SWAP,8)
	ds_swizzle_b32 v26, v30 offset:swizzle(SWAP,8)
	ds_swizzle_b32 v27, v31 offset:swizzle(SWAP,8)
	s_waitcnt lgkmcnt(0)
	scratch_store_dwordx4 v66, v[24:27], off
	scratch_load_dwordx4 v[24:27], v67, off
	s_waitcnt vmcnt(0)
	ds_swizzle_b32 v20, v24 offset:swizzle(SWAP,8)
	ds_swizzle_b32 v21, v25 offset:swizzle(SWAP,8)
	ds_swizzle_b32 v22, v26 offset:swizzle(SWAP,8)
	ds_swizzle_b32 v23, v27 offset:swizzle(SWAP,8)
	s_waitcnt lgkmcnt(0)
	scratch_store_dwordx4 v67, v[20:23], off
	scratch_load_dwordx4 v[20:23], v68, off
	s_waitcnt vmcnt(0)
	ds_swizzle_b32 v12, v20 offset:swizzle(SWAP,8)
	ds_swizzle_b32 v13, v21 offset:swizzle(SWAP,8)
	ds_swizzle_b32 v14, v22 offset:swizzle(SWAP,8)
	ds_swizzle_b32 v15, v23 offset:swizzle(SWAP,8)
	s_waitcnt lgkmcnt(0)
	scratch_store_dwordx4 v68, v[12:15], off
	scratch_load_dwordx4 v[12:15], v69, off
	s_waitcnt vmcnt(0)
	ds_swizzle_b32 v12, v12 offset:swizzle(SWAP,8)
	ds_swizzle_b32 v13, v13 offset:swizzle(SWAP,8)
	ds_swizzle_b32 v14, v14 offset:swizzle(SWAP,8)
	ds_swizzle_b32 v15, v15 offset:swizzle(SWAP,8)
	s_waitcnt lgkmcnt(0)
	scratch_store_dwordx4 v69, v[12:15], off
	scratch_load_dwordx4 v[12:15], v70, off
	s_waitcnt vmcnt(0)
	ds_swizzle_b32 v8, v12 offset:swizzle(SWAP,8)
	ds_swizzle_b32 v9, v13 offset:swizzle(SWAP,8)
	ds_swizzle_b32 v10, v14 offset:swizzle(SWAP,8)
	ds_swizzle_b32 v11, v15 offset:swizzle(SWAP,8)
	s_waitcnt lgkmcnt(0)
	scratch_store_dwordx4 v70, v[8:11], off
	scratch_load_dwordx4 v[8:11], v71, off
	s_nop 0
	scratch_load_dwordx4 v[12:15], v74, off
	s_nop 0
	scratch_store_dwordx4 off, v[4:7], off offset:224
	s_waitcnt vmcnt(2)
	ds_swizzle_b32 v4, v8 offset:swizzle(SWAP,8)
	ds_swizzle_b32 v5, v9 offset:swizzle(SWAP,8)
	;; [unrolled: 1-line block ×4, first 2 shown]
	s_waitcnt vmcnt(1)
	ds_swizzle_b32 v8, v12 offset:swizzle(SWAP,4)
	ds_swizzle_b32 v9, v13 offset:swizzle(SWAP,4)
	;; [unrolled: 1-line block ×4, first 2 shown]
	s_waitcnt lgkmcnt(4)
	scratch_store_dwordx4 v71, v[4:7], off
	s_waitcnt lgkmcnt(0)
	scratch_store_dwordx4 v74, v[8:11], off
	scratch_load_dwordx4 v[4:7], v72, off
	s_nop 0
	scratch_load_dwordx4 v[8:11], v75, off
	s_nop 0
	scratch_store_dwordx4 off, v[0:3], off offset:240
	s_waitcnt vmcnt(2)
	ds_swizzle_b32 v0, v4 offset:swizzle(SWAP,8)
	ds_swizzle_b32 v1, v5 offset:swizzle(SWAP,8)
	;; [unrolled: 1-line block ×4, first 2 shown]
	s_waitcnt vmcnt(1)
	ds_swizzle_b32 v4, v8 offset:swizzle(SWAP,4)
	ds_swizzle_b32 v5, v9 offset:swizzle(SWAP,4)
	ds_swizzle_b32 v6, v10 offset:swizzle(SWAP,4)
	ds_swizzle_b32 v7, v11 offset:swizzle(SWAP,4)
	s_waitcnt lgkmcnt(4)
	scratch_store_dwordx4 v72, v[0:3], off
	s_waitcnt lgkmcnt(0)
	scratch_store_dwordx4 v75, v[4:7], off
	scratch_load_dwordx4 v[0:3], v73, off
	s_nop 0
	scratch_load_dwordx4 v[4:7], v76, off
	s_waitcnt vmcnt(1)
	ds_swizzle_b32 v0, v0 offset:swizzle(SWAP,8)
	ds_swizzle_b32 v1, v1 offset:swizzle(SWAP,8)
	;; [unrolled: 1-line block ×4, first 2 shown]
	s_waitcnt vmcnt(0)
	ds_swizzle_b32 v4, v4 offset:swizzle(SWAP,4)
	ds_swizzle_b32 v5, v5 offset:swizzle(SWAP,4)
	ds_swizzle_b32 v6, v6 offset:swizzle(SWAP,4)
	ds_swizzle_b32 v7, v7 offset:swizzle(SWAP,4)
	s_waitcnt lgkmcnt(4)
	scratch_store_dwordx4 v73, v[0:3], off
	s_waitcnt lgkmcnt(0)
	scratch_store_dwordx4 v76, v[4:7], off
	scratch_load_dwordx4 v[0:3], v78, off
	s_nop 0
	scratch_load_dwordx4 v[4:7], v77, off
	s_waitcnt vmcnt(1)
	ds_swizzle_b32 v0, v0 offset:swizzle(SWAP,4)
	ds_swizzle_b32 v1, v1 offset:swizzle(SWAP,4)
	;; [unrolled: 1-line block ×4, first 2 shown]
	s_waitcnt vmcnt(0)
	ds_swizzle_b32 v4, v4 offset:swizzle(SWAP,4)
	ds_swizzle_b32 v5, v5 offset:swizzle(SWAP,4)
	;; [unrolled: 1-line block ×4, first 2 shown]
	s_waitcnt lgkmcnt(4)
	scratch_store_dwordx4 v78, v[0:3], off
	scratch_load_dwordx4 v[0:3], v79, off
	s_nop 0
	scratch_load_dwordx4 v[8:11], v82, off
	s_waitcnt vmcnt(1)
	ds_swizzle_b32 v0, v0 offset:swizzle(SWAP,4)
	ds_swizzle_b32 v1, v1 offset:swizzle(SWAP,4)
	;; [unrolled: 1-line block ×4, first 2 shown]
	s_waitcnt lgkmcnt(4)
	scratch_store_dwordx4 v77, v[4:7], off
	s_waitcnt vmcnt(1)
	ds_swizzle_b32 v4, v8 offset:swizzle(SWAP,2)
	ds_swizzle_b32 v5, v9 offset:swizzle(SWAP,2)
	;; [unrolled: 1-line block ×3, first 2 shown]
	s_waitcnt lgkmcnt(3)
	scratch_store_dwordx4 v79, v[0:3], off
	scratch_load_dwordx4 v[0:3], v80, off
	ds_swizzle_b32 v7, v11 offset:swizzle(SWAP,2)
	s_waitcnt lgkmcnt(0)
	scratch_store_dwordx4 v82, v[4:7], off
	scratch_load_dwordx4 v[4:7], v65, off
	s_waitcnt vmcnt(2)
	ds_swizzle_b32 v0, v0 offset:swizzle(SWAP,4)
	ds_swizzle_b32 v1, v1 offset:swizzle(SWAP,4)
	;; [unrolled: 1-line block ×4, first 2 shown]
	s_waitcnt vmcnt(0)
	ds_swizzle_b32 v4, v4 offset:swizzle(SWAP,2)
	s_waitcnt lgkmcnt(1)
	scratch_store_dwordx4 v80, v[0:3], off
	scratch_load_dwordx4 v[0:3], v83, off
	s_nop 0
	scratch_load_dwordx4 v[8:11], v81, off
	ds_swizzle_b32 v5, v5 offset:swizzle(SWAP,2)
	ds_swizzle_b32 v6, v6 offset:swizzle(SWAP,2)
	;; [unrolled: 1-line block ×3, first 2 shown]
	s_waitcnt vmcnt(1)
	ds_swizzle_b32 v0, v0 offset:swizzle(SWAP,2)
	ds_swizzle_b32 v1, v1 offset:swizzle(SWAP,2)
	;; [unrolled: 1-line block ×4, first 2 shown]
	s_waitcnt vmcnt(0)
	ds_swizzle_b32 v8, v8 offset:swizzle(SWAP,4)
	ds_swizzle_b32 v9, v9 offset:swizzle(SWAP,4)
	;; [unrolled: 1-line block ×4, first 2 shown]
	s_waitcnt lgkmcnt(4)
	scratch_store_dwordx4 v83, v[0:3], off
	scratch_load_dwordx4 v[0:3], v86, off
	s_nop 0
	scratch_load_dwordx4 v[12:15], v84, off
	s_waitcnt vmcnt(1)
	ds_swizzle_b32 v0, v0 offset:swizzle(SWAP,2)
	ds_swizzle_b32 v1, v1 offset:swizzle(SWAP,2)
	;; [unrolled: 1-line block ×4, first 2 shown]
	s_waitcnt lgkmcnt(4)
	scratch_store_dwordx4 v81, v[8:11], off
	s_waitcnt vmcnt(1)
	ds_swizzle_b32 v12, v12 offset:swizzle(SWAP,2)
	ds_swizzle_b32 v13, v13 offset:swizzle(SWAP,2)
	;; [unrolled: 1-line block ×3, first 2 shown]
	s_waitcnt lgkmcnt(3)
	scratch_store_dwordx4 v86, v[0:3], off
	scratch_load_dwordx4 v[0:3], v90, off
	s_nop 0
	scratch_load_dwordx4 v[8:11], v88, off
	ds_swizzle_b32 v15, v15 offset:swizzle(SWAP,2)
	scratch_store_dwordx4 v65, v[4:7], off
	scratch_load_dwordx4 v[4:7], v96, off
	s_waitcnt vmcnt(3)
	ds_swizzle_b32 v0, v0 offset:swizzle(SWAP,2)
	ds_swizzle_b32 v1, v1 offset:swizzle(SWAP,2)
	;; [unrolled: 1-line block ×4, first 2 shown]
	s_waitcnt lgkmcnt(4)
	scratch_store_dwordx4 v84, v[12:15], off
	s_waitcnt vmcnt(3)
	ds_swizzle_b32 v8, v8 offset:swizzle(SWAP,2)
	ds_swizzle_b32 v9, v9 offset:swizzle(SWAP,2)
	;; [unrolled: 1-line block ×3, first 2 shown]
	s_waitcnt lgkmcnt(3)
	scratch_store_dwordx4 v90, v[0:3], off
	scratch_load_dwordx4 v[0:3], v92, off
	s_nop 0
	scratch_load_dwordx4 v[12:15], v93, off
	scratch_load_dwordx4 v[16:19], v87, off
	ds_swizzle_b32 v11, v11 offset:swizzle(SWAP,2)
	s_waitcnt vmcnt(5)
	ds_swizzle_b32 v4, v4 offset:swizzle(SWAP,1)
	ds_swizzle_b32 v5, v5 offset:swizzle(SWAP,1)
	ds_swizzle_b32 v6, v6 offset:swizzle(SWAP,1)
	ds_swizzle_b32 v7, v7 offset:swizzle(SWAP,1)
	s_waitcnt lgkmcnt(4)
	scratch_store_dwordx4 v88, v[8:11], off
	scratch_load_dwordx4 v[8:11], v85, off
	s_nop 0
	scratch_load_dwordx4 v[20:23], v89, off
	scratch_load_dwordx4 v[24:27], v91, off
	s_waitcnt vmcnt(6)
	ds_swizzle_b32 v0, v0 offset:swizzle(SWAP,2)
	ds_swizzle_b32 v1, v1 offset:swizzle(SWAP,2)
	;; [unrolled: 1-line block ×4, first 2 shown]
	s_waitcnt lgkmcnt(0)
	scratch_store_dwordx4 v92, v[0:3], off
	scratch_load_dwordx4 v[0:3], v94, off
	s_nop 0
	scratch_load_dwordx4 v[98:101], v95, off
	s_waitcnt vmcnt(1)
	ds_swizzle_b32 v0, v0 offset:swizzle(SWAP,1)
	scratch_store_dwordx4 v96, v[4:7], off
	ds_swizzle_b32 v4, v12 offset:swizzle(SWAP,1)
	ds_swizzle_b32 v5, v13 offset:swizzle(SWAP,1)
	;; [unrolled: 1-line block ×4, first 2 shown]
	scratch_load_dwordx4 v[44:47], off, off offset:48
	ds_swizzle_b32 v1, v1 offset:swizzle(SWAP,1)
	ds_swizzle_b32 v2, v2 offset:swizzle(SWAP,1)
	;; [unrolled: 1-line block ×3, first 2 shown]
	s_waitcnt lgkmcnt(3)
	scratch_store_dwordx4 v93, v[4:7], off
	ds_swizzle_b32 v4, v16 offset:swizzle(SWAP,1)
	ds_swizzle_b32 v5, v17 offset:swizzle(SWAP,1)
	;; [unrolled: 1-line block ×4, first 2 shown]
	scratch_load_dwordx4 v[48:51], off, off offset:64
	scratch_load_dwordx4 v[40:43], off, off offset:80
	s_waitcnt lgkmcnt(0)
	scratch_store_dwordx4 v87, v[4:7], off
	ds_swizzle_b32 v4, v8 offset:swizzle(SWAP,1)
	ds_swizzle_b32 v5, v9 offset:swizzle(SWAP,1)
	;; [unrolled: 1-line block ×8, first 2 shown]
	scratch_load_dwordx4 v[32:35], off, off offset:96
	scratch_load_dwordx4 v[28:31], off, off offset:112
	s_waitcnt lgkmcnt(4)
	scratch_store_dwordx4 v85, v[4:7], off
	s_waitcnt lgkmcnt(0)
	scratch_store_dwordx4 v89, v[8:11], off
	ds_swizzle_b32 v4, v24 offset:swizzle(SWAP,1)
	ds_swizzle_b32 v5, v25 offset:swizzle(SWAP,1)
	ds_swizzle_b32 v6, v26 offset:swizzle(SWAP,1)
	ds_swizzle_b32 v7, v27 offset:swizzle(SWAP,1)
	scratch_load_dwordx4 v[60:63], off, off
	scratch_load_dwordx4 v[56:59], off, off offset:16
	scratch_load_dwordx4 v[52:55], off, off offset:32
	;; [unrolled: 1-line block ×4, first 2 shown]
	s_waitcnt lgkmcnt(0)
	scratch_store_dwordx4 v91, v[4:7], off
	s_waitcnt vmcnt(16)
	ds_swizzle_b32 v4, v98 offset:swizzle(SWAP,1)
	ds_swizzle_b32 v5, v99 offset:swizzle(SWAP,1)
	;; [unrolled: 1-line block ×4, first 2 shown]
	scratch_load_dwordx4 v[20:23], off, off offset:160
	scratch_load_dwordx4 v[12:15], off, off offset:176
	s_nop 0
	scratch_store_dwordx4 v94, v[0:3], off
	s_waitcnt lgkmcnt(0)
	scratch_store_dwordx4 v95, v[4:7], off
	scratch_load_dwordx4 v[16:19], off, off offset:192
	scratch_load_dwordx4 v[8:11], off, off offset:208
	s_nop 0
	scratch_load_dwordx4 v[4:7], off, off offset:224
	scratch_load_dwordx4 v[0:3], off, off offset:240
	; wave barrier
	s_cbranch_scc1 .LBB80_2
	s_branch .LBB80_4
.LBB80_3:
	v_mov_b32_e32 v65, 0
	v_mov_b64_e32 v[62:63], 0
	v_mov_b64_e32 v[2:3], 0
	v_mov_b32_e32 v57, v65
	v_mov_b32_e32 v53, v65
	;; [unrolled: 1-line block ×13, first 2 shown]
	v_mov_b64_e32 v[60:61], v[64:65]
	v_mov_b64_e32 v[58:59], v[62:63]
	;; [unrolled: 1-line block ×13, first 2 shown]
	v_mov_b32_e32 v9, v65
	v_mov_b64_e32 v[10:11], v[62:63]
	v_mov_b32_e32 v5, v65
	v_mov_b64_e32 v[6:7], v[62:63]
.LBB80_4:
	s_load_dwordx2 s[0:1], s[0:1], 0x0
	v_lshl_or_b32 v64, s2, 12, v64
	v_mov_b32_e32 v65, 0
	s_waitcnt lgkmcnt(0)
	v_lshl_add_u64 v[64:65], v[64:65], 4, s[0:1]
	s_waitcnt vmcnt(13)
	global_store_dwordx4 v[64:65], v[60:63], off
	s_waitcnt vmcnt(13)
	global_store_dwordx4 v[64:65], v[56:59], off offset:16
	s_waitcnt vmcnt(13)
	global_store_dwordx4 v[64:65], v[52:55], off offset:32
	global_store_dwordx4 v[64:65], v[44:47], off offset:48
	;; [unrolled: 1-line block ×6, first 2 shown]
	s_waitcnt vmcnt(18)
	global_store_dwordx4 v[64:65], v[36:39], off offset:128
	s_waitcnt vmcnt(18)
	global_store_dwordx4 v[64:65], v[24:27], off offset:144
	;; [unrolled: 2-line block ×8, first 2 shown]
	s_endpgm
	.section	.rodata,"a",@progbits
	.p2align	6, 0x0
	.amdhsa_kernel _Z20warp_exchange_kernelILj256ELj16ELj16EN6common25BlockedToStripedShuffleOpEoEvPT3_j
		.amdhsa_group_segment_fixed_size 0
		.amdhsa_private_segment_fixed_size 272
		.amdhsa_kernarg_size 12
		.amdhsa_user_sgpr_count 2
		.amdhsa_user_sgpr_dispatch_ptr 0
		.amdhsa_user_sgpr_queue_ptr 0
		.amdhsa_user_sgpr_kernarg_segment_ptr 1
		.amdhsa_user_sgpr_dispatch_id 0
		.amdhsa_user_sgpr_kernarg_preload_length 0
		.amdhsa_user_sgpr_kernarg_preload_offset 0
		.amdhsa_user_sgpr_private_segment_size 0
		.amdhsa_uses_dynamic_stack 0
		.amdhsa_enable_private_segment 1
		.amdhsa_system_sgpr_workgroup_id_x 1
		.amdhsa_system_sgpr_workgroup_id_y 0
		.amdhsa_system_sgpr_workgroup_id_z 0
		.amdhsa_system_sgpr_workgroup_info 0
		.amdhsa_system_vgpr_workitem_id 0
		.amdhsa_next_free_vgpr 102
		.amdhsa_next_free_sgpr 6
		.amdhsa_accum_offset 104
		.amdhsa_reserve_vcc 1
		.amdhsa_float_round_mode_32 0
		.amdhsa_float_round_mode_16_64 0
		.amdhsa_float_denorm_mode_32 3
		.amdhsa_float_denorm_mode_16_64 3
		.amdhsa_dx10_clamp 1
		.amdhsa_ieee_mode 1
		.amdhsa_fp16_overflow 0
		.amdhsa_tg_split 0
		.amdhsa_exception_fp_ieee_invalid_op 0
		.amdhsa_exception_fp_denorm_src 0
		.amdhsa_exception_fp_ieee_div_zero 0
		.amdhsa_exception_fp_ieee_overflow 0
		.amdhsa_exception_fp_ieee_underflow 0
		.amdhsa_exception_fp_ieee_inexact 0
		.amdhsa_exception_int_div_zero 0
	.end_amdhsa_kernel
	.section	.text._Z20warp_exchange_kernelILj256ELj16ELj16EN6common25BlockedToStripedShuffleOpEoEvPT3_j,"axG",@progbits,_Z20warp_exchange_kernelILj256ELj16ELj16EN6common25BlockedToStripedShuffleOpEoEvPT3_j,comdat
.Lfunc_end80:
	.size	_Z20warp_exchange_kernelILj256ELj16ELj16EN6common25BlockedToStripedShuffleOpEoEvPT3_j, .Lfunc_end80-_Z20warp_exchange_kernelILj256ELj16ELj16EN6common25BlockedToStripedShuffleOpEoEvPT3_j
                                        ; -- End function
	.section	.AMDGPU.csdata,"",@progbits
; Kernel info:
; codeLenInByte = 3024
; NumSgprs: 12
; NumVgprs: 102
; NumAgprs: 0
; TotalNumVgprs: 102
; ScratchSize: 272
; MemoryBound: 0
; FloatMode: 240
; IeeeMode: 1
; LDSByteSize: 0 bytes/workgroup (compile time only)
; SGPRBlocks: 1
; VGPRBlocks: 12
; NumSGPRsForWavesPerEU: 12
; NumVGPRsForWavesPerEU: 102
; AccumOffset: 104
; Occupancy: 4
; WaveLimiterHint : 0
; COMPUTE_PGM_RSRC2:SCRATCH_EN: 1
; COMPUTE_PGM_RSRC2:USER_SGPR: 2
; COMPUTE_PGM_RSRC2:TRAP_HANDLER: 0
; COMPUTE_PGM_RSRC2:TGID_X_EN: 1
; COMPUTE_PGM_RSRC2:TGID_Y_EN: 0
; COMPUTE_PGM_RSRC2:TGID_Z_EN: 0
; COMPUTE_PGM_RSRC2:TIDIG_COMP_CNT: 0
; COMPUTE_PGM_RSRC3_GFX90A:ACCUM_OFFSET: 25
; COMPUTE_PGM_RSRC3_GFX90A:TG_SPLIT: 0
	.section	.text._Z20warp_exchange_kernelILj256ELj16ELj32EN6common25BlockedToStripedShuffleOpEoEvPT3_j,"axG",@progbits,_Z20warp_exchange_kernelILj256ELj16ELj32EN6common25BlockedToStripedShuffleOpEoEvPT3_j,comdat
	.protected	_Z20warp_exchange_kernelILj256ELj16ELj32EN6common25BlockedToStripedShuffleOpEoEvPT3_j ; -- Begin function _Z20warp_exchange_kernelILj256ELj16ELj32EN6common25BlockedToStripedShuffleOpEoEvPT3_j
	.globl	_Z20warp_exchange_kernelILj256ELj16ELj32EN6common25BlockedToStripedShuffleOpEoEvPT3_j
	.p2align	8
	.type	_Z20warp_exchange_kernelILj256ELj16ELj32EN6common25BlockedToStripedShuffleOpEoEvPT3_j,@function
_Z20warp_exchange_kernelILj256ELj16ELj32EN6common25BlockedToStripedShuffleOpEoEvPT3_j: ; @_Z20warp_exchange_kernelILj256ELj16ELj32EN6common25BlockedToStripedShuffleOpEoEvPT3_j
; %bb.0:
	s_load_dword s3, s[0:1], 0x8
	v_lshlrev_b32_e32 v64, 4, v0
	v_or_b32_e32 v52, 1, v64
	v_or_b32_e32 v0, 2, v64
	;; [unrolled: 1-line block ×14, first 2 shown]
	s_waitcnt lgkmcnt(0)
	s_cmp_eq_u32 s3, 0
	v_or_b32_e32 v36, 15, v64
	v_mov_b32_e32 v65, 0
	s_cbranch_scc1 .LBB81_4
; %bb.1:
	v_mbcnt_lo_u32_b32 v1, -1, 0
	v_mbcnt_hi_u32_b32 v1, -1, v1
	v_and_b32_e32 v2, 3, v1
	v_mov_b32_e32 v3, 0
	v_lshl_add_u32 v17, v2, 4, v3
	v_add_u32_e32 v6, -1, v1
	v_xor_b32_e32 v2, 2, v2
	v_and_b32_e32 v6, 3, v6
	v_lshl_add_u32 v67, v2, 4, v3
	v_add_u32_e32 v2, 3, v2
	v_lshl_add_u32 v66, v6, 4, v3
	v_and_b32_e32 v6, 3, v2
	v_lshlrev_b32_e32 v2, 4, v2
	v_lshl_add_u32 v68, v6, 4, v3
	v_or_b32_e32 v3, 64, v2
	v_or_b32_e32 v2, 0xc0, v2
	v_add_u32_e32 v69, 0, v3
	v_add_u32_e32 v70, 0, v2
	v_and_b32_e32 v2, 0x60, v1
	v_add_u32_e32 v3, 28, v1
	v_and_or_b32 v3, v3, 31, v2
	v_lshlrev_b32_e32 v71, 2, v3
	v_add_u32_e32 v3, 24, v1
	v_and_or_b32 v3, v3, 31, v2
	v_lshlrev_b32_e32 v72, 2, v3
	;; [unrolled: 3-line block ×3, first 2 shown]
	v_lshlrev_b32_e32 v3, 2, v1
	v_xor_b32_e32 v74, 64, v3
	v_add_u32_e32 v3, 12, v1
	v_and_or_b32 v3, v3, 31, v2
	v_lshlrev_b32_e32 v75, 2, v3
	v_add_u32_e32 v3, 8, v1
	v_and_or_b32 v3, v3, 31, v2
	v_lshlrev_b32_e32 v76, 2, v3
	;; [unrolled: 3-line block ×3, first 2 shown]
	v_lshrrev_b32_e32 v2, 2, v1
	v_add_u32_e32 v6, -1, v2
	v_mov_b32_e32 v3, 0x100
	v_and_b32_e32 v6, 7, v6
	v_bfe_u32 v1, v1, 2, 3
	v_lshl_add_u32 v79, v6, 4, v3
	v_add_u32_e32 v6, 6, v2
	v_add_u32_e32 v2, 5, v2
	v_lshl_add_u32 v78, v1, 4, v3
	v_and_b32_e32 v2, 7, v2
	v_xor_b32_e32 v1, 4, v1
	v_and_b32_e32 v6, 7, v6
	v_lshl_add_u32 v81, v2, 4, v3
	v_add_u32_e32 v2, 7, v1
	v_lshl_add_u32 v80, v6, 4, v3
	v_and_b32_e32 v6, 7, v2
	v_lshl_add_u32 v83, v6, 4, v3
	v_mov_b32_e32 v6, 0x80
	v_lshl_or_b32 v2, v2, 4, v6
	v_add_u32_e32 v84, 0x100, v2
	v_add_u32_e32 v2, 6, v1
	v_lshl_add_u32 v82, v1, 4, v3
	v_and_b32_e32 v7, 7, v2
	v_lshl_or_b32 v2, v2, 4, v6
	v_add_u32_e32 v1, 5, v1
	v_mov_b64_e32 v[38:39], 0
	v_add_u32_e32 v86, 0x100, v2
	v_and_b32_e32 v2, 7, v1
	v_lshl_or_b32 v1, v1, 4, v6
	v_mov_b32_e32 v37, v65
	v_mov_b32_e32 v13, v65
	;; [unrolled: 1-line block ×9, first 2 shown]
	v_lshl_add_u32 v85, v7, 4, v3
	v_lshl_add_u32 v87, v2, 4, v3
	v_add_u32_e32 v88, 0x100, v1
	v_mov_b64_e32 v[14:15], v[38:39]
	v_mov_b64_e32 v[46:47], v[38:39]
	;; [unrolled: 1-line block ×8, first 2 shown]
	v_mov_b32_e32 v18, v65
	v_mov_b32_e32 v19, v65
	;; [unrolled: 1-line block ×6, first 2 shown]
	v_mov_b64_e32 v[34:35], v[38:39]
	v_mov_b32_e32 v21, v65
	v_mov_b32_e32 v22, v65
	;; [unrolled: 1-line block ×9, first 2 shown]
	v_mov_b64_e32 v[62:63], 0
	v_mov_b64_e32 v[60:61], v[64:65]
.LBB81_2:                               ; =>This Inner Loop Header: Depth=1
	s_waitcnt lgkmcnt(0)
	scratch_store_dwordx4 off, v[36:39], off offset:240
	scratch_load_dwordx2 v[38:39], off, off offset:248
	s_nop 0
	scratch_store_dwordx4 off, v[32:35], off offset:64
	scratch_store_dwordx4 off, v[8:11], off offset:176
	scratch_load_dwordx2 v[90:91], off, off offset:184
	v_mov_b32_dpp v44, v44 quad_perm:[3,0,1,2] row_mask:0xf bank_mask:0xf
	v_mov_b32_dpp v45, v45 quad_perm:[3,0,1,2] row_mask:0xf bank_mask:0xf
	;; [unrolled: 1-line block ×6, first 2 shown]
	scratch_store_dwordx4 off, v[24:27], off offset:128
	scratch_store_dwordx4 off, v[28:31], off offset:192
	v_mov_b32_dpp v10, v12 quad_perm:[2,3,0,1] row_mask:0xf bank_mask:0xf
	v_mov_b32_dpp v24, v56 quad_perm:[3,0,1,2] row_mask:0xf bank_mask:0xf
	;; [unrolled: 1-line block ×8, first 2 shown]
	s_waitcnt vmcnt(8)
	scratch_store_dwordx4 off, v[60:63], off
	scratch_store_dwordx4 off, v[44:47], off offset:208
	scratch_store_dwordx4 off, v[10:13], off offset:224
	v_mov_b32_dpp v28, v16 quad_perm:[2,3,0,1] row_mask:0xf bank_mask:0xf
	v_mov_b32_dpp v29, v65 quad_perm:[2,3,0,1] row_mask:0xf bank_mask:0xf
	;; [unrolled: 1-line block ×8, first 2 shown]
	s_waitcnt vmcnt(10)
	v_mov_b32_dpp v48, v52 quad_perm:[3,0,1,2] row_mask:0xf bank_mask:0xf
	v_mov_b32_dpp v49, v53 quad_perm:[3,0,1,2] row_mask:0xf bank_mask:0xf
	;; [unrolled: 1-line block ×22, first 2 shown]
	s_add_i32 s3, s3, -1
	s_cmp_eq_u32 s3, 0
	s_waitcnt vmcnt(8)
	v_mov_b32_dpp v38, v38 quad_perm:[1,2,3,0] row_mask:0xf bank_mask:0xf
	v_mov_b32_dpp v39, v39 quad_perm:[1,2,3,0] row_mask:0xf bank_mask:0xf
	scratch_store_dwordx4 off, v[36:39], off offset:240
	scratch_load_dwordx4 v[12:15], v66, off offset:192
	s_nop 0
	scratch_store_dwordx4 off, v[24:27], off offset:80
	scratch_store_dwordx4 off, v[28:31], off offset:96
	;; [unrolled: 1-line block ×3, first 2 shown]
	scratch_load_dwordx4 v[24:27], v69, off
	s_nop 0
	scratch_load_dwordx4 v[0:3], v70, off
	scratch_load_dwordx4 v[28:31], v67, off offset:64
	scratch_load_dwordx4 v[32:35], v17, off offset:64
	s_waitcnt vmcnt(14)
	v_mov_b32_dpp v10, v90 quad_perm:[1,2,3,0] row_mask:0xf bank_mask:0xf
	v_mov_b32_dpp v11, v91 quad_perm:[1,2,3,0] row_mask:0xf bank_mask:0xf
	scratch_store_dwordx4 off, v[40:43], off offset:144
	scratch_load_dwordx4 v[36:39], v66, off offset:64
	s_nop 0
	scratch_store_dwordx4 off, v[4:7], off offset:160
	scratch_store_dwordx4 off, v[48:51], off offset:16
	;; [unrolled: 1-line block ×3, first 2 shown]
	scratch_load_dwordx4 v[4:7], v68, off offset:128
	s_nop 0
	scratch_store_dwordx4 off, v[52:55], off offset:32
	scratch_store_dwordx4 off, v[18:21], off offset:48
	scratch_load_dwordx4 v[8:11], v67, off
	s_nop 0
	scratch_load_dwordx4 v[18:21], v67, off offset:128
	scratch_load_dwordx4 v[40:43], v66, off
	scratch_load_dwordx4 v[44:47], v67, off offset:192
	scratch_load_dwordx4 v[48:51], v68, off
	scratch_load_dwordx4 v[52:55], v17, off offset:128
	scratch_load_dwordx4 v[56:59], v17, off offset:192
	;; [unrolled: 1-line block ×3, first 2 shown]
	s_waitcnt vmcnt(3)
	v_mov_b32_dpp v22, v48 quad_perm:[3,0,1,2] row_mask:0xf bank_mask:0xf
	scratch_store_dwordx4 off, v[12:15], off offset:368
	scratch_load_dwordx4 v[12:15], off, off offset:368
	v_mov_b32_dpp v23, v49 quad_perm:[3,0,1,2] row_mask:0xf bank_mask:0xf
	scratch_store_dwordx4 off, v[0:3], off offset:496
	scratch_load_dword v3, off, off offset:508
	s_nop 0
	scratch_load_dwordx4 v[90:93], v17, off
	s_nop 0
	scratch_store_dwordx4 off, v[28:31], off offset:400
	scratch_store_dwordx4 off, v[32:35], off offset:272
	scratch_load_dwordx4 v[28:31], off, off offset:400
	v_mov_b32_dpp v0, v0 quad_perm:[3,0,1,2] row_mask:0xf bank_mask:0xf
	scratch_store_dwordx4 off, v[24:27], off offset:464
	scratch_load_dword v16, off, off offset:476
	v_mov_b32_dpp v32, v36 quad_perm:[1,2,3,0] row_mask:0xf bank_mask:0xf
	scratch_store_dwordx4 off, v[4:7], off offset:480
	scratch_load_dword v7, off, off offset:492
	s_nop 0
	scratch_store_dwordx4 off, v[8:11], off offset:384
	scratch_store_dwordx4 off, v[18:21], off offset:416
	;; [unrolled: 1-line block ×3, first 2 shown]
	scratch_load_dwordx4 v[8:11], off, off offset:416
	v_mov_b32_dpp v18, v40 quad_perm:[1,2,3,0] row_mask:0xf bank_mask:0xf
	v_mov_b32_dpp v19, v41 quad_perm:[1,2,3,0] row_mask:0xf bank_mask:0xf
	v_mov_b32_dpp v20, v42 quad_perm:[1,2,3,0] row_mask:0xf bank_mask:0xf
	v_mov_b32_dpp v21, v43 quad_perm:[1,2,3,0] row_mask:0xf bank_mask:0xf
	scratch_load_dwordx4 v[40:43], off, off offset:432
	v_mov_b32_dpp v33, v37 quad_perm:[1,2,3,0] row_mask:0xf bank_mask:0xf
	v_mov_b32_dpp v34, v38 quad_perm:[1,2,3,0] row_mask:0xf bank_mask:0xf
	;; [unrolled: 1-line block ×3, first 2 shown]
	scratch_store_dwordx4 off, v[32:35], off offset:336
	scratch_load_dwordx4 v[36:39], off, off offset:272
	s_waitcnt vmcnt(19)
	v_mov_b32_dpp v44, v60 quad_perm:[1,2,3,0] row_mask:0xf bank_mask:0xf
	scratch_load_dwordx4 v[32:35], off, off offset:336
	v_mov_b32_dpp v45, v61 quad_perm:[1,2,3,0] row_mask:0xf bank_mask:0xf
	scratch_store_dwordx4 off, v[18:21], off offset:320
	scratch_store_dwordx4 off, v[52:55], off offset:288
	;; [unrolled: 1-line block ×3, first 2 shown]
	v_mov_b32_dpp v18, v24 quad_perm:[3,0,1,2] row_mask:0xf bank_mask:0xf
	v_mov_b32_dpp v19, v25 quad_perm:[3,0,1,2] row_mask:0xf bank_mask:0xf
	;; [unrolled: 1-line block ×4, first 2 shown]
	scratch_load_dwordx4 v[52:55], off, off offset:288
	scratch_load_dwordx4 v[56:59], off, off offset:304
	v_mov_b32_dpp v46, v62 quad_perm:[1,2,3,0] row_mask:0xf bank_mask:0xf
	v_mov_b32_dpp v47, v63 quad_perm:[1,2,3,0] row_mask:0xf bank_mask:0xf
	scratch_load_dwordx4 v[48:51], off, off offset:384
	s_nop 0
	scratch_store_dwordx4 off, v[22:25], off offset:448
	scratch_store_dwordx4 off, v[44:47], off offset:352
	scratch_load_dwordx4 v[22:25], off, off offset:320
	v_mov_b32_dpp v1, v1 quad_perm:[3,0,1,2] row_mask:0xf bank_mask:0xf
	scratch_load_dwordx4 v[44:47], off, off offset:352
	v_mov_b32_dpp v2, v2 quad_perm:[3,0,1,2] row_mask:0xf bank_mask:0xf
	v_mov_b32_dpp v20, v26 quad_perm:[3,0,1,2] row_mask:0xf bank_mask:0xf
	;; [unrolled: 1-line block ×5, first 2 shown]
	s_waitcnt vmcnt(28)
	v_mov_b32_dpp v12, v12 quad_perm:[1,2,3,0] row_mask:0xf bank_mask:0xf
	v_mov_b32_dpp v13, v13 quad_perm:[1,2,3,0] row_mask:0xf bank_mask:0xf
	;; [unrolled: 1-line block ×4, first 2 shown]
	s_waitcnt vmcnt(26)
	v_mov_b32_dpp v3, v3 quad_perm:[3,0,1,2] row_mask:0xf bank_mask:0xf
	scratch_store_dwordx4 off, v[12:15], off offset:368
	scratch_store_dwordx4 off, v[0:3], off offset:496
	scratch_load_dwordx4 v[0:3], off, off offset:368
	s_waitcnt vmcnt(25)
	v_mov_b32_dpp v12, v28 quad_perm:[2,3,0,1] row_mask:0xf bank_mask:0xf
	v_mov_b32_dpp v13, v29 quad_perm:[2,3,0,1] row_mask:0xf bank_mask:0xf
	scratch_load_dwordx4 v[26:29], off, off offset:496
	v_mov_b32_dpp v14, v30 quad_perm:[2,3,0,1] row_mask:0xf bank_mask:0xf
	v_mov_b32_dpp v15, v31 quad_perm:[2,3,0,1] row_mask:0xf bank_mask:0xf
	s_waitcnt vmcnt(24)
	v_mov_b32_dpp v21, v16 quad_perm:[3,0,1,2] row_mask:0xf bank_mask:0xf
	scratch_store_dwordx4 off, v[12:15], off offset:400
	scratch_load_dwordx4 v[12:15], off, off offset:400
	s_waitcnt vmcnt(24)
	v_mov_b32_dpp v7, v7 quad_perm:[3,0,1,2] row_mask:0xf bank_mask:0xf
	scratch_store_dwordx4 off, v[18:21], off offset:464
	scratch_store_dwordx4 off, v[4:7], off offset:480
	s_waitcnt vmcnt(22)
	v_mov_b32_dpp v8, v8 quad_perm:[2,3,0,1] row_mask:0xf bank_mask:0xf
	v_mov_b32_dpp v9, v9 quad_perm:[2,3,0,1] row_mask:0xf bank_mask:0xf
	;; [unrolled: 1-line block ×4, first 2 shown]
	s_waitcnt vmcnt(21)
	v_mov_b32_dpp v40, v40 quad_perm:[2,3,0,1] row_mask:0xf bank_mask:0xf
	v_mov_b32_dpp v41, v41 quad_perm:[2,3,0,1] row_mask:0xf bank_mask:0xf
	;; [unrolled: 1-line block ×4, first 2 shown]
	scratch_load_dwordx4 v[4:7], off, off offset:464
	scratch_load_dwordx4 v[60:63], off, off offset:448
	;; [unrolled: 1-line block ×3, first 2 shown]
	s_waitcnt vmcnt(22)
	ds_bpermute_b32 v36, v71, v36
	scratch_store_dwordx4 off, v[8:11], off offset:416
	scratch_store_dwordx4 off, v[40:43], off offset:432
	scratch_load_dwordx4 v[8:11], off, off offset:416
	ds_bpermute_b32 v37, v71, v37
	scratch_load_dwordx4 v[40:43], off, off offset:432
	ds_bpermute_b32 v38, v71, v38
	ds_bpermute_b32 v39, v71, v39
	s_waitcnt vmcnt(25)
	ds_bpermute_b32 v30, v75, v32
	ds_bpermute_b32 v31, v75, v33
	;; [unrolled: 1-line block ×4, first 2 shown]
	scratch_store_dwordx4 off, v[90:93], off offset:256
	s_waitcnt lgkmcnt(4)
	scratch_store_dwordx4 off, v[36:39], off offset:272
	s_waitcnt lgkmcnt(0)
	scratch_store_dwordx4 off, v[30:33], off offset:336
	s_waitcnt vmcnt(24)
	ds_bpermute_b32 v34, v72, v52
	ds_bpermute_b32 v35, v72, v53
	;; [unrolled: 1-line block ×4, first 2 shown]
	s_waitcnt vmcnt(22)
	v_mov_b32_dpp v30, v48 quad_perm:[2,3,0,1] row_mask:0xf bank_mask:0xf
	v_mov_b32_dpp v31, v49 quad_perm:[2,3,0,1] row_mask:0xf bank_mask:0xf
	;; [unrolled: 1-line block ×4, first 2 shown]
	ds_bpermute_b32 v48, v73, v56
	ds_bpermute_b32 v49, v73, v57
	;; [unrolled: 1-line block ×4, first 2 shown]
	s_waitcnt vmcnt(19)
	ds_bpermute_b32 v22, v74, v22
	ds_bpermute_b32 v23, v74, v23
	;; [unrolled: 1-line block ×4, first 2 shown]
	s_waitcnt vmcnt(18)
	ds_bpermute_b32 v44, v76, v44
	ds_bpermute_b32 v45, v76, v45
	;; [unrolled: 1-line block ×4, first 2 shown]
	scratch_store_dwordx4 off, v[30:33], off offset:384
	s_waitcnt lgkmcnt(12)
	scratch_store_dwordx4 off, v[34:37], off offset:288
	s_waitcnt lgkmcnt(8)
	scratch_store_dwordx4 off, v[48:51], off offset:304
	s_waitcnt lgkmcnt(4)
	scratch_store_dwordx4 off, v[22:25], off offset:320
	s_waitcnt lgkmcnt(0)
	scratch_store_dwordx4 off, v[44:47], off offset:352
	s_waitcnt vmcnt(20)
	ds_bpermute_b32 v0, v77, v0
	ds_bpermute_b32 v1, v77, v1
	ds_bpermute_b32 v2, v77, v2
	ds_bpermute_b32 v3, v77, v3
	s_waitcnt vmcnt(19)
	ds_bpermute_b32 v22, v77, v26
	ds_bpermute_b32 v23, v77, v27
	ds_bpermute_b32 v24, v77, v28
	ds_bpermute_b32 v25, v77, v29
	;; [unrolled: 5-line block ×3, first 2 shown]
	s_waitcnt lgkmcnt(8)
	scratch_store_dwordx4 off, v[0:3], off offset:368
	s_waitcnt lgkmcnt(4)
	scratch_store_dwordx4 off, v[22:25], off offset:496
	scratch_load_dwordx4 v[0:3], v79, off
	s_waitcnt vmcnt(17)
	ds_bpermute_b32 v4, v75, v4
	scratch_load_dwordx4 v[26:29], v80, off
	ds_bpermute_b32 v5, v75, v5
	ds_bpermute_b32 v6, v75, v6
	;; [unrolled: 1-line block ×3, first 2 shown]
	s_waitcnt vmcnt(16)
	ds_bpermute_b32 v18, v76, v18
	ds_bpermute_b32 v19, v76, v19
	;; [unrolled: 1-line block ×4, first 2 shown]
	scratch_load_dwordx4 v[36:39], v81, off
	scratch_load_dwordx4 v[44:47], v82, off
	s_waitcnt vmcnt(14)
	ds_bpermute_b32 v22, v73, v40
	ds_bpermute_b32 v23, v73, v41
	;; [unrolled: 1-line block ×4, first 2 shown]
	scratch_load_dwordx4 v[40:43], v83, off
	scratch_load_dwordx4 v[48:51], v85, off
	;; [unrolled: 1-line block ×3, first 2 shown]
	ds_bpermute_b32 v8, v72, v8
	ds_bpermute_b32 v9, v72, v9
	;; [unrolled: 1-line block ×8, first 2 shown]
	s_waitcnt lgkmcnt(14)
	scratch_store_dwordx4 off, v[12:15], off offset:400
	scratch_store_dwordx4 off, v[4:7], off offset:464
	s_waitcnt lgkmcnt(12)
	scratch_store_dwordx4 off, v[18:21], off offset:480
	s_waitcnt lgkmcnt(4)
	scratch_store_dwordx4 off, v[8:11], off offset:416
	scratch_store_dwordx4 off, v[22:25], off offset:432
	s_waitcnt lgkmcnt(0)
	scratch_store_dwordx4 off, v[30:33], off offset:448
	scratch_load_dwordx4 v[8:11], v79, off offset:128
	scratch_load_dwordx4 v[56:59], v80, off offset:128
	;; [unrolled: 1-line block ×4, first 2 shown]
	scratch_load_dwordx4 v[94:97], v84, off
	scratch_load_dwordx4 v[98:101], v86, off
	;; [unrolled: 1-line block ×3, first 2 shown]
	s_waitcnt vmcnt(19)
	ds_bpermute_b32 v0, v77, v0
	ds_bpermute_b32 v1, v77, v1
	ds_bpermute_b32 v2, v77, v2
	ds_bpermute_b32 v3, v77, v3
	s_waitcnt vmcnt(18)
	ds_bpermute_b32 v34, v76, v28
	ds_bpermute_b32 v35, v76, v29
	ds_bpermute_b32 v32, v76, v26
	ds_bpermute_b32 v33, v76, v27
	;; [unrolled: 5-line block ×3, first 2 shown]
	s_waitcnt vmcnt(16)
	ds_bpermute_b32 v24, v74, v44
	ds_bpermute_b32 v25, v74, v45
	s_waitcnt vmcnt(14)
	ds_bpermute_b32 v28, v72, v48
	ds_bpermute_b32 v29, v72, v49
	ds_bpermute_b32 v30, v72, v50
	ds_bpermute_b32 v31, v72, v51
	s_waitcnt vmcnt(13)
	ds_bpermute_b32 v12, v71, v52
	ds_bpermute_b32 v13, v71, v53
	;; [unrolled: 5-line block ×3, first 2 shown]
	ds_bpermute_b32 v50, v75, v62
	ds_bpermute_b32 v51, v75, v63
	scratch_load_dwordx4 v[60:63], v78, off
	scratch_load_dwordx4 v[52:55], v78, off offset:128
	ds_bpermute_b32 v26, v74, v46
	ds_bpermute_b32 v27, v74, v47
	;; [unrolled: 1-line block ×14, first 2 shown]
	s_waitcnt vmcnt(5)
	ds_bpermute_b32 v40, v74, v90
	ds_bpermute_b32 v41, v74, v91
	ds_bpermute_b32 v42, v74, v92
	ds_bpermute_b32 v43, v74, v93
	s_waitcnt vmcnt(4)
	ds_bpermute_b32 v8, v73, v94
	ds_bpermute_b32 v9, v73, v95
	ds_bpermute_b32 v10, v73, v96
	ds_bpermute_b32 v11, v73, v97
	;; [unrolled: 5-line block ×4, first 2 shown]
	; wave barrier
	s_cbranch_scc0 .LBB81_2
; %bb.3:
	s_waitcnt lgkmcnt(14)
	v_mov_b32_e32 v17, v65
	s_branch .LBB81_5
.LBB81_4:
	v_mov_b64_e32 v[62:63], 0
	v_mov_b64_e32 v[38:39], 0
	v_mov_b32_e32 v53, v65
	v_mov_b32_e32 v1, v65
	;; [unrolled: 1-line block ×13, first 2 shown]
	v_mov_b64_e32 v[60:61], v[64:65]
	v_mov_b64_e32 v[54:55], v[62:63]
	;; [unrolled: 1-line block ×13, first 2 shown]
	v_mov_b32_e32 v45, v65
	v_mov_b64_e32 v[46:47], v[62:63]
	v_mov_b32_e32 v13, v65
	v_mov_b64_e32 v[14:15], v[62:63]
.LBB81_5:
	s_load_dwordx2 s[0:1], s[0:1], 0x0
	v_lshl_or_b32 v64, s2, 12, v64
	v_mov_b32_e32 v65, 0
	s_waitcnt lgkmcnt(0)
	v_lshl_add_u64 v[64:65], v[64:65], 4, s[0:1]
	s_waitcnt vmcnt(1)
	global_store_dwordx4 v[64:65], v[60:63], off
	s_waitcnt vmcnt(1)
	global_store_dwordx4 v[64:65], v[52:55], off offset:16
	global_store_dwordx4 v[64:65], v[0:3], off offset:32
	;; [unrolled: 1-line block ×15, first 2 shown]
	s_endpgm
	.section	.rodata,"a",@progbits
	.p2align	6, 0x0
	.amdhsa_kernel _Z20warp_exchange_kernelILj256ELj16ELj32EN6common25BlockedToStripedShuffleOpEoEvPT3_j
		.amdhsa_group_segment_fixed_size 0
		.amdhsa_private_segment_fixed_size 528
		.amdhsa_kernarg_size 12
		.amdhsa_user_sgpr_count 2
		.amdhsa_user_sgpr_dispatch_ptr 0
		.amdhsa_user_sgpr_queue_ptr 0
		.amdhsa_user_sgpr_kernarg_segment_ptr 1
		.amdhsa_user_sgpr_dispatch_id 0
		.amdhsa_user_sgpr_kernarg_preload_length 0
		.amdhsa_user_sgpr_kernarg_preload_offset 0
		.amdhsa_user_sgpr_private_segment_size 0
		.amdhsa_uses_dynamic_stack 0
		.amdhsa_enable_private_segment 1
		.amdhsa_system_sgpr_workgroup_id_x 1
		.amdhsa_system_sgpr_workgroup_id_y 0
		.amdhsa_system_sgpr_workgroup_id_z 0
		.amdhsa_system_sgpr_workgroup_info 0
		.amdhsa_system_vgpr_workitem_id 0
		.amdhsa_next_free_vgpr 106
		.amdhsa_next_free_sgpr 4
		.amdhsa_accum_offset 108
		.amdhsa_reserve_vcc 0
		.amdhsa_float_round_mode_32 0
		.amdhsa_float_round_mode_16_64 0
		.amdhsa_float_denorm_mode_32 3
		.amdhsa_float_denorm_mode_16_64 3
		.amdhsa_dx10_clamp 1
		.amdhsa_ieee_mode 1
		.amdhsa_fp16_overflow 0
		.amdhsa_tg_split 0
		.amdhsa_exception_fp_ieee_invalid_op 0
		.amdhsa_exception_fp_denorm_src 0
		.amdhsa_exception_fp_ieee_div_zero 0
		.amdhsa_exception_fp_ieee_overflow 0
		.amdhsa_exception_fp_ieee_underflow 0
		.amdhsa_exception_fp_ieee_inexact 0
		.amdhsa_exception_int_div_zero 0
	.end_amdhsa_kernel
	.section	.text._Z20warp_exchange_kernelILj256ELj16ELj32EN6common25BlockedToStripedShuffleOpEoEvPT3_j,"axG",@progbits,_Z20warp_exchange_kernelILj256ELj16ELj32EN6common25BlockedToStripedShuffleOpEoEvPT3_j,comdat
.Lfunc_end81:
	.size	_Z20warp_exchange_kernelILj256ELj16ELj32EN6common25BlockedToStripedShuffleOpEoEvPT3_j, .Lfunc_end81-_Z20warp_exchange_kernelILj256ELj16ELj32EN6common25BlockedToStripedShuffleOpEoEvPT3_j
                                        ; -- End function
	.section	.AMDGPU.csdata,"",@progbits
; Kernel info:
; codeLenInByte = 3756
; NumSgprs: 10
; NumVgprs: 106
; NumAgprs: 0
; TotalNumVgprs: 106
; ScratchSize: 528
; MemoryBound: 0
; FloatMode: 240
; IeeeMode: 1
; LDSByteSize: 0 bytes/workgroup (compile time only)
; SGPRBlocks: 1
; VGPRBlocks: 13
; NumSGPRsForWavesPerEU: 10
; NumVGPRsForWavesPerEU: 106
; AccumOffset: 108
; Occupancy: 4
; WaveLimiterHint : 1
; COMPUTE_PGM_RSRC2:SCRATCH_EN: 1
; COMPUTE_PGM_RSRC2:USER_SGPR: 2
; COMPUTE_PGM_RSRC2:TRAP_HANDLER: 0
; COMPUTE_PGM_RSRC2:TGID_X_EN: 1
; COMPUTE_PGM_RSRC2:TGID_Y_EN: 0
; COMPUTE_PGM_RSRC2:TGID_Z_EN: 0
; COMPUTE_PGM_RSRC2:TIDIG_COMP_CNT: 0
; COMPUTE_PGM_RSRC3_GFX90A:ACCUM_OFFSET: 26
; COMPUTE_PGM_RSRC3_GFX90A:TG_SPLIT: 0
	.section	.text._Z20warp_exchange_kernelILj256ELj1ELj16EN6common25StripedToBlockedShuffleOpEoEvPT3_j,"axG",@progbits,_Z20warp_exchange_kernelILj256ELj1ELj16EN6common25StripedToBlockedShuffleOpEoEvPT3_j,comdat
	.protected	_Z20warp_exchange_kernelILj256ELj1ELj16EN6common25StripedToBlockedShuffleOpEoEvPT3_j ; -- Begin function _Z20warp_exchange_kernelILj256ELj1ELj16EN6common25StripedToBlockedShuffleOpEoEvPT3_j
	.globl	_Z20warp_exchange_kernelILj256ELj1ELj16EN6common25StripedToBlockedShuffleOpEoEvPT3_j
	.p2align	8
	.type	_Z20warp_exchange_kernelILj256ELj1ELj16EN6common25StripedToBlockedShuffleOpEoEvPT3_j,@function
_Z20warp_exchange_kernelILj256ELj1ELj16EN6common25StripedToBlockedShuffleOpEoEvPT3_j: ; @_Z20warp_exchange_kernelILj256ELj1ELj16EN6common25StripedToBlockedShuffleOpEoEvPT3_j
; %bb.0:
	s_load_dword s3, s[0:1], 0x8
	v_mov_b32_e32 v5, 0
	s_waitcnt lgkmcnt(0)
	s_cmp_eq_u32 s3, 0
	s_cbranch_scc1 .LBB82_3
; %bb.1:
	v_mbcnt_lo_u32_b32 v1, -1, 0
	v_mbcnt_hi_u32_b32 v1, -1, v1
	v_lshlrev_b32_e32 v1, 2, v1
	v_mov_b32_e32 v2, v0
	v_mov_b32_e32 v3, 0
	;; [unrolled: 1-line block ×3, first 2 shown]
.LBB82_2:                               ; =>This Inner Loop Header: Depth=1
	s_waitcnt lgkmcnt(3)
	ds_bpermute_b32 v2, v1, v2
	s_waitcnt lgkmcnt(3)
	ds_bpermute_b32 v3, v1, v3
	s_waitcnt lgkmcnt(3)
	ds_bpermute_b32 v4, v1, v4
	s_waitcnt lgkmcnt(3)
	ds_bpermute_b32 v5, v1, v5
	s_add_i32 s3, s3, -1
	s_cmp_lg_u32 s3, 0
	; wave barrier
	s_cbranch_scc1 .LBB82_2
	s_branch .LBB82_4
.LBB82_3:
	v_mov_b32_e32 v2, v0
	v_mov_b32_e32 v3, 0
	;; [unrolled: 1-line block ×3, first 2 shown]
.LBB82_4:
	s_load_dwordx2 s[0:1], s[0:1], 0x0
	v_lshl_or_b32 v0, s2, 8, v0
	v_mov_b32_e32 v1, 0
	s_waitcnt lgkmcnt(0)
	v_lshl_add_u64 v[0:1], v[0:1], 4, s[0:1]
	global_store_dwordx4 v[0:1], v[2:5], off
	s_endpgm
	.section	.rodata,"a",@progbits
	.p2align	6, 0x0
	.amdhsa_kernel _Z20warp_exchange_kernelILj256ELj1ELj16EN6common25StripedToBlockedShuffleOpEoEvPT3_j
		.amdhsa_group_segment_fixed_size 0
		.amdhsa_private_segment_fixed_size 0
		.amdhsa_kernarg_size 12
		.amdhsa_user_sgpr_count 2
		.amdhsa_user_sgpr_dispatch_ptr 0
		.amdhsa_user_sgpr_queue_ptr 0
		.amdhsa_user_sgpr_kernarg_segment_ptr 1
		.amdhsa_user_sgpr_dispatch_id 0
		.amdhsa_user_sgpr_kernarg_preload_length 0
		.amdhsa_user_sgpr_kernarg_preload_offset 0
		.amdhsa_user_sgpr_private_segment_size 0
		.amdhsa_uses_dynamic_stack 0
		.amdhsa_enable_private_segment 0
		.amdhsa_system_sgpr_workgroup_id_x 1
		.amdhsa_system_sgpr_workgroup_id_y 0
		.amdhsa_system_sgpr_workgroup_id_z 0
		.amdhsa_system_sgpr_workgroup_info 0
		.amdhsa_system_vgpr_workitem_id 0
		.amdhsa_next_free_vgpr 6
		.amdhsa_next_free_sgpr 4
		.amdhsa_accum_offset 8
		.amdhsa_reserve_vcc 0
		.amdhsa_float_round_mode_32 0
		.amdhsa_float_round_mode_16_64 0
		.amdhsa_float_denorm_mode_32 3
		.amdhsa_float_denorm_mode_16_64 3
		.amdhsa_dx10_clamp 1
		.amdhsa_ieee_mode 1
		.amdhsa_fp16_overflow 0
		.amdhsa_tg_split 0
		.amdhsa_exception_fp_ieee_invalid_op 0
		.amdhsa_exception_fp_denorm_src 0
		.amdhsa_exception_fp_ieee_div_zero 0
		.amdhsa_exception_fp_ieee_overflow 0
		.amdhsa_exception_fp_ieee_underflow 0
		.amdhsa_exception_fp_ieee_inexact 0
		.amdhsa_exception_int_div_zero 0
	.end_amdhsa_kernel
	.section	.text._Z20warp_exchange_kernelILj256ELj1ELj16EN6common25StripedToBlockedShuffleOpEoEvPT3_j,"axG",@progbits,_Z20warp_exchange_kernelILj256ELj1ELj16EN6common25StripedToBlockedShuffleOpEoEvPT3_j,comdat
.Lfunc_end82:
	.size	_Z20warp_exchange_kernelILj256ELj1ELj16EN6common25StripedToBlockedShuffleOpEoEvPT3_j, .Lfunc_end82-_Z20warp_exchange_kernelILj256ELj1ELj16EN6common25StripedToBlockedShuffleOpEoEvPT3_j
                                        ; -- End function
	.section	.AMDGPU.csdata,"",@progbits
; Kernel info:
; codeLenInByte = 176
; NumSgprs: 10
; NumVgprs: 6
; NumAgprs: 0
; TotalNumVgprs: 6
; ScratchSize: 0
; MemoryBound: 0
; FloatMode: 240
; IeeeMode: 1
; LDSByteSize: 0 bytes/workgroup (compile time only)
; SGPRBlocks: 1
; VGPRBlocks: 0
; NumSGPRsForWavesPerEU: 10
; NumVGPRsForWavesPerEU: 6
; AccumOffset: 8
; Occupancy: 8
; WaveLimiterHint : 0
; COMPUTE_PGM_RSRC2:SCRATCH_EN: 0
; COMPUTE_PGM_RSRC2:USER_SGPR: 2
; COMPUTE_PGM_RSRC2:TRAP_HANDLER: 0
; COMPUTE_PGM_RSRC2:TGID_X_EN: 1
; COMPUTE_PGM_RSRC2:TGID_Y_EN: 0
; COMPUTE_PGM_RSRC2:TGID_Z_EN: 0
; COMPUTE_PGM_RSRC2:TIDIG_COMP_CNT: 0
; COMPUTE_PGM_RSRC3_GFX90A:ACCUM_OFFSET: 1
; COMPUTE_PGM_RSRC3_GFX90A:TG_SPLIT: 0
	.section	.text._Z20warp_exchange_kernelILj256ELj1ELj32EN6common25StripedToBlockedShuffleOpEoEvPT3_j,"axG",@progbits,_Z20warp_exchange_kernelILj256ELj1ELj32EN6common25StripedToBlockedShuffleOpEoEvPT3_j,comdat
	.protected	_Z20warp_exchange_kernelILj256ELj1ELj32EN6common25StripedToBlockedShuffleOpEoEvPT3_j ; -- Begin function _Z20warp_exchange_kernelILj256ELj1ELj32EN6common25StripedToBlockedShuffleOpEoEvPT3_j
	.globl	_Z20warp_exchange_kernelILj256ELj1ELj32EN6common25StripedToBlockedShuffleOpEoEvPT3_j
	.p2align	8
	.type	_Z20warp_exchange_kernelILj256ELj1ELj32EN6common25StripedToBlockedShuffleOpEoEvPT3_j,@function
_Z20warp_exchange_kernelILj256ELj1ELj32EN6common25StripedToBlockedShuffleOpEoEvPT3_j: ; @_Z20warp_exchange_kernelILj256ELj1ELj32EN6common25StripedToBlockedShuffleOpEoEvPT3_j
; %bb.0:
	s_load_dword s3, s[0:1], 0x8
	v_mov_b32_e32 v5, 0
	s_waitcnt lgkmcnt(0)
	s_cmp_eq_u32 s3, 0
	s_cbranch_scc1 .LBB83_3
; %bb.1:
	v_mbcnt_lo_u32_b32 v1, -1, 0
	v_mbcnt_hi_u32_b32 v1, -1, v1
	v_lshlrev_b32_e32 v1, 2, v1
	v_mov_b32_e32 v2, v0
	v_mov_b32_e32 v3, 0
	;; [unrolled: 1-line block ×3, first 2 shown]
.LBB83_2:                               ; =>This Inner Loop Header: Depth=1
	s_waitcnt lgkmcnt(3)
	ds_bpermute_b32 v2, v1, v2
	s_waitcnt lgkmcnt(3)
	ds_bpermute_b32 v3, v1, v3
	;; [unrolled: 2-line block ×4, first 2 shown]
	s_add_i32 s3, s3, -1
	s_cmp_lg_u32 s3, 0
	; wave barrier
	s_cbranch_scc1 .LBB83_2
	s_branch .LBB83_4
.LBB83_3:
	v_mov_b32_e32 v2, v0
	v_mov_b32_e32 v3, 0
	v_mov_b32_e32 v4, 0
.LBB83_4:
	s_load_dwordx2 s[0:1], s[0:1], 0x0
	v_lshl_or_b32 v0, s2, 8, v0
	v_mov_b32_e32 v1, 0
	s_waitcnt lgkmcnt(0)
	v_lshl_add_u64 v[0:1], v[0:1], 4, s[0:1]
	global_store_dwordx4 v[0:1], v[2:5], off
	s_endpgm
	.section	.rodata,"a",@progbits
	.p2align	6, 0x0
	.amdhsa_kernel _Z20warp_exchange_kernelILj256ELj1ELj32EN6common25StripedToBlockedShuffleOpEoEvPT3_j
		.amdhsa_group_segment_fixed_size 0
		.amdhsa_private_segment_fixed_size 0
		.amdhsa_kernarg_size 12
		.amdhsa_user_sgpr_count 2
		.amdhsa_user_sgpr_dispatch_ptr 0
		.amdhsa_user_sgpr_queue_ptr 0
		.amdhsa_user_sgpr_kernarg_segment_ptr 1
		.amdhsa_user_sgpr_dispatch_id 0
		.amdhsa_user_sgpr_kernarg_preload_length 0
		.amdhsa_user_sgpr_kernarg_preload_offset 0
		.amdhsa_user_sgpr_private_segment_size 0
		.amdhsa_uses_dynamic_stack 0
		.amdhsa_enable_private_segment 0
		.amdhsa_system_sgpr_workgroup_id_x 1
		.amdhsa_system_sgpr_workgroup_id_y 0
		.amdhsa_system_sgpr_workgroup_id_z 0
		.amdhsa_system_sgpr_workgroup_info 0
		.amdhsa_system_vgpr_workitem_id 0
		.amdhsa_next_free_vgpr 6
		.amdhsa_next_free_sgpr 4
		.amdhsa_accum_offset 8
		.amdhsa_reserve_vcc 0
		.amdhsa_float_round_mode_32 0
		.amdhsa_float_round_mode_16_64 0
		.amdhsa_float_denorm_mode_32 3
		.amdhsa_float_denorm_mode_16_64 3
		.amdhsa_dx10_clamp 1
		.amdhsa_ieee_mode 1
		.amdhsa_fp16_overflow 0
		.amdhsa_tg_split 0
		.amdhsa_exception_fp_ieee_invalid_op 0
		.amdhsa_exception_fp_denorm_src 0
		.amdhsa_exception_fp_ieee_div_zero 0
		.amdhsa_exception_fp_ieee_overflow 0
		.amdhsa_exception_fp_ieee_underflow 0
		.amdhsa_exception_fp_ieee_inexact 0
		.amdhsa_exception_int_div_zero 0
	.end_amdhsa_kernel
	.section	.text._Z20warp_exchange_kernelILj256ELj1ELj32EN6common25StripedToBlockedShuffleOpEoEvPT3_j,"axG",@progbits,_Z20warp_exchange_kernelILj256ELj1ELj32EN6common25StripedToBlockedShuffleOpEoEvPT3_j,comdat
.Lfunc_end83:
	.size	_Z20warp_exchange_kernelILj256ELj1ELj32EN6common25StripedToBlockedShuffleOpEoEvPT3_j, .Lfunc_end83-_Z20warp_exchange_kernelILj256ELj1ELj32EN6common25StripedToBlockedShuffleOpEoEvPT3_j
                                        ; -- End function
	.section	.AMDGPU.csdata,"",@progbits
; Kernel info:
; codeLenInByte = 176
; NumSgprs: 10
; NumVgprs: 6
; NumAgprs: 0
; TotalNumVgprs: 6
; ScratchSize: 0
; MemoryBound: 0
; FloatMode: 240
; IeeeMode: 1
; LDSByteSize: 0 bytes/workgroup (compile time only)
; SGPRBlocks: 1
; VGPRBlocks: 0
; NumSGPRsForWavesPerEU: 10
; NumVGPRsForWavesPerEU: 6
; AccumOffset: 8
; Occupancy: 8
; WaveLimiterHint : 0
; COMPUTE_PGM_RSRC2:SCRATCH_EN: 0
; COMPUTE_PGM_RSRC2:USER_SGPR: 2
; COMPUTE_PGM_RSRC2:TRAP_HANDLER: 0
; COMPUTE_PGM_RSRC2:TGID_X_EN: 1
; COMPUTE_PGM_RSRC2:TGID_Y_EN: 0
; COMPUTE_PGM_RSRC2:TGID_Z_EN: 0
; COMPUTE_PGM_RSRC2:TIDIG_COMP_CNT: 0
; COMPUTE_PGM_RSRC3_GFX90A:ACCUM_OFFSET: 1
; COMPUTE_PGM_RSRC3_GFX90A:TG_SPLIT: 0
	.section	.text._Z20warp_exchange_kernelILj256ELj4ELj16EN6common25StripedToBlockedShuffleOpEoEvPT3_j,"axG",@progbits,_Z20warp_exchange_kernelILj256ELj4ELj16EN6common25StripedToBlockedShuffleOpEoEvPT3_j,comdat
	.protected	_Z20warp_exchange_kernelILj256ELj4ELj16EN6common25StripedToBlockedShuffleOpEoEvPT3_j ; -- Begin function _Z20warp_exchange_kernelILj256ELj4ELj16EN6common25StripedToBlockedShuffleOpEoEvPT3_j
	.globl	_Z20warp_exchange_kernelILj256ELj4ELj16EN6common25StripedToBlockedShuffleOpEoEvPT3_j
	.p2align	8
	.type	_Z20warp_exchange_kernelILj256ELj4ELj16EN6common25StripedToBlockedShuffleOpEoEvPT3_j,@function
_Z20warp_exchange_kernelILj256ELj4ELj16EN6common25StripedToBlockedShuffleOpEoEvPT3_j: ; @_Z20warp_exchange_kernelILj256ELj4ELj16EN6common25StripedToBlockedShuffleOpEoEvPT3_j
; %bb.0:
	s_load_dword s3, s[0:1], 0x8
	v_lshlrev_b32_e32 v16, 2, v0
	v_or_b32_e32 v12, 1, v16
	v_or_b32_e32 v4, 2, v16
	;; [unrolled: 1-line block ×3, first 2 shown]
	s_waitcnt lgkmcnt(0)
	s_cmp_eq_u32 s3, 0
	s_cbranch_scc1 .LBB84_3
; %bb.1:
	v_mbcnt_lo_u32_b32 v6, -1, 0
	v_mbcnt_hi_u32_b32 v6, -1, v6
	v_and_b32_e32 v7, 0x70, v6
	v_add_u32_e32 v8, 12, v6
	v_and_or_b32 v8, v8, 15, v7
	v_lshlrev_b32_e32 v18, 2, v8
	v_lshlrev_b32_e32 v8, 2, v6
	v_xor_b32_e32 v19, 32, v8
	v_add_u32_e32 v8, 4, v6
	v_and_or_b32 v7, v8, 15, v7
	v_lshlrev_b32_e32 v20, 2, v7
	v_lshrrev_b32_e32 v7, 2, v6
	v_add_u32_e32 v7, -1, v7
	v_bfe_u32 v8, v6, 2, 2
	v_mov_b32_e32 v9, 0
	v_and_b32_e32 v7, 3, v7
	v_lshl_add_u32 v22, v7, 4, v9
	v_xor_b32_e32 v7, 2, v8
	v_lshl_add_u32 v23, v7, 4, v9
	v_add_u32_e32 v7, -1, v7
	v_and_b32_e32 v7, 3, v7
	v_lshl_add_u32 v24, v7, 4, v9
	v_and_b32_e32 v7, 3, v6
	v_add_u32_e32 v6, -1, v6
	v_lshl_add_u32 v21, v8, 4, v9
	v_mov_b32_e32 v8, 64
	v_and_b32_e32 v6, 3, v6
	v_lshl_add_u32 v26, v6, 4, v8
	v_xor_b32_e32 v6, 2, v7
	v_mov_b32_e32 v1, 0
	v_lshl_add_u32 v27, v6, 4, v8
	v_add_u32_e32 v6, -1, v6
	v_mov_b64_e32 v[2:3], 0
	v_mov_b32_e32 v17, v1
	v_and_b32_e32 v6, 3, v6
	v_mov_b64_e32 v[10:11], 0
	v_mov_b32_e32 v5, v1
	v_mov_b32_e32 v13, v1
	v_lshl_add_u32 v25, v7, 4, v8
	v_lshl_add_u32 v28, v6, 4, v8
	v_mov_b64_e32 v[6:7], v[2:3]
	v_mov_b64_e32 v[14:15], v[2:3]
	;; [unrolled: 1-line block ×3, first 2 shown]
.LBB84_2:                               ; =>This Inner Loop Header: Depth=1
	s_waitcnt vmcnt(0)
	scratch_store_dwordx4 off, v[8:11], off
	scratch_store_dwordx4 off, v[12:15], off offset:16
	scratch_store_dwordx4 off, v[4:7], off offset:32
	ds_bpermute_b32 v12, v18, v12
	ds_bpermute_b32 v13, v18, v13
	;; [unrolled: 1-line block ×12, first 2 shown]
	scratch_store_dwordx4 off, v[0:3], off offset:48
	scratch_store_dwordx4 v21, v[8:11], off
	s_waitcnt lgkmcnt(8)
	scratch_store_dwordx4 v22, v[12:15], off
	s_waitcnt lgkmcnt(4)
	;; [unrolled: 2-line block ×3, first 2 shown]
	scratch_store_dwordx4 v24, v[30:33], off
	scratch_load_dwordx4 v[0:3], off, off offset:16
	scratch_load_dwordx4 v[4:7], off, off offset:32
	;; [unrolled: 1-line block ×3, first 2 shown]
	scratch_load_dwordx4 v[12:15], off, off
	s_add_i32 s3, s3, -1
	s_cmp_lg_u32 s3, 0
	s_waitcnt vmcnt(3)
	ds_bpermute_b32 v0, v20, v0
	ds_bpermute_b32 v1, v20, v1
	ds_bpermute_b32 v2, v20, v2
	ds_bpermute_b32 v3, v20, v3
	s_waitcnt vmcnt(2)
	ds_bpermute_b32 v4, v19, v4
	ds_bpermute_b32 v5, v19, v5
	ds_bpermute_b32 v6, v19, v6
	ds_bpermute_b32 v7, v19, v7
	;; [unrolled: 5-line block ×3, first 2 shown]
	s_waitcnt lgkmcnt(11)
	v_mov_b32_dpp v0, v0 quad_perm:[3,0,1,2] row_mask:0xf bank_mask:0xf
	s_waitcnt lgkmcnt(10)
	v_mov_b32_dpp v1, v1 quad_perm:[3,0,1,2] row_mask:0xf bank_mask:0xf
	;; [unrolled: 2-line block ×4, first 2 shown]
	s_waitcnt vmcnt(0)
	scratch_store_dwordx4 v25, v[12:15], off
	s_waitcnt lgkmcnt(7)
	v_mov_b32_dpp v4, v4 quad_perm:[2,3,0,1] row_mask:0xf bank_mask:0xf
	s_waitcnt lgkmcnt(6)
	v_mov_b32_dpp v5, v5 quad_perm:[2,3,0,1] row_mask:0xf bank_mask:0xf
	;; [unrolled: 2-line block ×8, first 2 shown]
	scratch_store_dwordx4 v26, v[0:3], off
	scratch_store_dwordx4 v27, v[4:7], off
	;; [unrolled: 1-line block ×3, first 2 shown]
	scratch_load_dwordx4 v[0:3], off, off offset:80
	s_nop 0
	scratch_load_dwordx4 v[4:7], off, off offset:96
	scratch_load_dwordx4 v[30:33], off, off offset:112
	;; [unrolled: 1-line block ×3, first 2 shown]
	; wave barrier
	s_waitcnt vmcnt(3)
	v_mov_b32_dpp v12, v0 quad_perm:[1,2,3,0] row_mask:0xf bank_mask:0xf
	v_mov_b32_dpp v13, v1 quad_perm:[1,2,3,0] row_mask:0xf bank_mask:0xf
	v_mov_b32_dpp v14, v2 quad_perm:[1,2,3,0] row_mask:0xf bank_mask:0xf
	v_mov_b32_dpp v15, v3 quad_perm:[1,2,3,0] row_mask:0xf bank_mask:0xf
	s_waitcnt vmcnt(2)
	v_mov_b32_dpp v4, v4 quad_perm:[2,3,0,1] row_mask:0xf bank_mask:0xf
	v_mov_b32_dpp v5, v5 quad_perm:[2,3,0,1] row_mask:0xf bank_mask:0xf
	v_mov_b32_dpp v6, v6 quad_perm:[2,3,0,1] row_mask:0xf bank_mask:0xf
	v_mov_b32_dpp v7, v7 quad_perm:[2,3,0,1] row_mask:0xf bank_mask:0xf
	;; [unrolled: 5-line block ×3, first 2 shown]
	s_cbranch_scc1 .LBB84_2
	s_branch .LBB84_4
.LBB84_3:
	v_mov_b32_e32 v17, 0
	v_mov_b64_e32 v[10:11], 0
	v_mov_b64_e32 v[2:3], 0
	v_mov_b32_e32 v13, v17
	v_mov_b32_e32 v5, v17
	;; [unrolled: 1-line block ×3, first 2 shown]
	v_mov_b64_e32 v[8:9], v[16:17]
	v_mov_b64_e32 v[14:15], v[10:11]
	;; [unrolled: 1-line block ×3, first 2 shown]
.LBB84_4:
	s_load_dwordx2 s[0:1], s[0:1], 0x0
	v_lshl_or_b32 v16, s2, 10, v16
	v_mov_b32_e32 v17, 0
	s_waitcnt lgkmcnt(0)
	v_lshl_add_u64 v[16:17], v[16:17], 4, s[0:1]
	s_waitcnt vmcnt(0)
	global_store_dwordx4 v[16:17], v[8:11], off
	global_store_dwordx4 v[16:17], v[12:15], off offset:16
	global_store_dwordx4 v[16:17], v[4:7], off offset:32
	;; [unrolled: 1-line block ×3, first 2 shown]
	s_endpgm
	.section	.rodata,"a",@progbits
	.p2align	6, 0x0
	.amdhsa_kernel _Z20warp_exchange_kernelILj256ELj4ELj16EN6common25StripedToBlockedShuffleOpEoEvPT3_j
		.amdhsa_group_segment_fixed_size 0
		.amdhsa_private_segment_fixed_size 144
		.amdhsa_kernarg_size 12
		.amdhsa_user_sgpr_count 2
		.amdhsa_user_sgpr_dispatch_ptr 0
		.amdhsa_user_sgpr_queue_ptr 0
		.amdhsa_user_sgpr_kernarg_segment_ptr 1
		.amdhsa_user_sgpr_dispatch_id 0
		.amdhsa_user_sgpr_kernarg_preload_length 0
		.amdhsa_user_sgpr_kernarg_preload_offset 0
		.amdhsa_user_sgpr_private_segment_size 0
		.amdhsa_uses_dynamic_stack 0
		.amdhsa_enable_private_segment 1
		.amdhsa_system_sgpr_workgroup_id_x 1
		.amdhsa_system_sgpr_workgroup_id_y 0
		.amdhsa_system_sgpr_workgroup_id_z 0
		.amdhsa_system_sgpr_workgroup_info 0
		.amdhsa_system_vgpr_workitem_id 0
		.amdhsa_next_free_vgpr 34
		.amdhsa_next_free_sgpr 4
		.amdhsa_accum_offset 36
		.amdhsa_reserve_vcc 0
		.amdhsa_float_round_mode_32 0
		.amdhsa_float_round_mode_16_64 0
		.amdhsa_float_denorm_mode_32 3
		.amdhsa_float_denorm_mode_16_64 3
		.amdhsa_dx10_clamp 1
		.amdhsa_ieee_mode 1
		.amdhsa_fp16_overflow 0
		.amdhsa_tg_split 0
		.amdhsa_exception_fp_ieee_invalid_op 0
		.amdhsa_exception_fp_denorm_src 0
		.amdhsa_exception_fp_ieee_div_zero 0
		.amdhsa_exception_fp_ieee_overflow 0
		.amdhsa_exception_fp_ieee_underflow 0
		.amdhsa_exception_fp_ieee_inexact 0
		.amdhsa_exception_int_div_zero 0
	.end_amdhsa_kernel
	.section	.text._Z20warp_exchange_kernelILj256ELj4ELj16EN6common25StripedToBlockedShuffleOpEoEvPT3_j,"axG",@progbits,_Z20warp_exchange_kernelILj256ELj4ELj16EN6common25StripedToBlockedShuffleOpEoEvPT3_j,comdat
.Lfunc_end84:
	.size	_Z20warp_exchange_kernelILj256ELj4ELj16EN6common25StripedToBlockedShuffleOpEoEvPT3_j, .Lfunc_end84-_Z20warp_exchange_kernelILj256ELj4ELj16EN6common25StripedToBlockedShuffleOpEoEvPT3_j
                                        ; -- End function
	.section	.AMDGPU.csdata,"",@progbits
; Kernel info:
; codeLenInByte = 1028
; NumSgprs: 10
; NumVgprs: 34
; NumAgprs: 0
; TotalNumVgprs: 34
; ScratchSize: 144
; MemoryBound: 0
; FloatMode: 240
; IeeeMode: 1
; LDSByteSize: 0 bytes/workgroup (compile time only)
; SGPRBlocks: 1
; VGPRBlocks: 4
; NumSGPRsForWavesPerEU: 10
; NumVGPRsForWavesPerEU: 34
; AccumOffset: 36
; Occupancy: 8
; WaveLimiterHint : 0
; COMPUTE_PGM_RSRC2:SCRATCH_EN: 1
; COMPUTE_PGM_RSRC2:USER_SGPR: 2
; COMPUTE_PGM_RSRC2:TRAP_HANDLER: 0
; COMPUTE_PGM_RSRC2:TGID_X_EN: 1
; COMPUTE_PGM_RSRC2:TGID_Y_EN: 0
; COMPUTE_PGM_RSRC2:TGID_Z_EN: 0
; COMPUTE_PGM_RSRC2:TIDIG_COMP_CNT: 0
; COMPUTE_PGM_RSRC3_GFX90A:ACCUM_OFFSET: 8
; COMPUTE_PGM_RSRC3_GFX90A:TG_SPLIT: 0
	.section	.text._Z20warp_exchange_kernelILj256ELj4ELj32EN6common25StripedToBlockedShuffleOpEoEvPT3_j,"axG",@progbits,_Z20warp_exchange_kernelILj256ELj4ELj32EN6common25StripedToBlockedShuffleOpEoEvPT3_j,comdat
	.protected	_Z20warp_exchange_kernelILj256ELj4ELj32EN6common25StripedToBlockedShuffleOpEoEvPT3_j ; -- Begin function _Z20warp_exchange_kernelILj256ELj4ELj32EN6common25StripedToBlockedShuffleOpEoEvPT3_j
	.globl	_Z20warp_exchange_kernelILj256ELj4ELj32EN6common25StripedToBlockedShuffleOpEoEvPT3_j
	.p2align	8
	.type	_Z20warp_exchange_kernelILj256ELj4ELj32EN6common25StripedToBlockedShuffleOpEoEvPT3_j,@function
_Z20warp_exchange_kernelILj256ELj4ELj32EN6common25StripedToBlockedShuffleOpEoEvPT3_j: ; @_Z20warp_exchange_kernelILj256ELj4ELj32EN6common25StripedToBlockedShuffleOpEoEvPT3_j
; %bb.0:
	s_load_dword s3, s[0:1], 0x8
	v_lshlrev_b32_e32 v16, 2, v0
	v_mov_b32_e32 v17, 0
	v_or_b32_e32 v22, 1, v16
	v_or_b32_e32 v20, 2, v16
	s_waitcnt lgkmcnt(0)
	s_cmp_eq_u32 s3, 0
	v_or_b32_e32 v18, 3, v16
	s_cbranch_scc1 .LBB85_27
; %bb.1:
	v_mbcnt_lo_u32_b32 v0, -1, 0
	v_mbcnt_hi_u32_b32 v0, -1, v0
	v_lshlrev_b32_e32 v2, 2, v0
	v_and_b32_e32 v3, 0x60, v0
	v_and_or_b32 v2, v2, 28, v3
	v_and_b32_e32 v1, 31, v0
	v_bfe_u32 v0, v0, 3, 2
	v_lshlrev_b32_e32 v26, 2, v2
	v_cmp_gt_u32_e32 vcc, 8, v1
	v_cmp_eq_u32_e64 s[8:9], 1, v0
	v_cmp_eq_u32_e64 s[4:5], 2, v0
	;; [unrolled: 1-line block ×3, first 2 shown]
	v_or_b32_e32 v27, 4, v26
	v_or_b32_e32 v28, 8, v26
	;; [unrolled: 1-line block ×3, first 2 shown]
	v_mov_b32_e32 v30, 0
	v_mov_b32_e32 v31, 0
	;; [unrolled: 1-line block ×12, first 2 shown]
	s_branch .LBB85_3
.LBB85_2:                               ;   in Loop: Header=BB85_3 Depth=1
	s_or_b64 exec, exec, s[10:11]
	s_add_i32 s3, s3, -1
	s_cmp_lg_u32 s3, 0
	s_waitcnt lgkmcnt(3)
	v_mov_b32_e32 v18, v12
	v_mov_b32_e32 v17, v13
	;; [unrolled: 1-line block ×4, first 2 shown]
	s_waitcnt lgkmcnt(1)
	v_mov_b32_e32 v20, v8
	v_mov_b32_e32 v19, v9
	;; [unrolled: 1-line block ×5, first 2 shown]
	s_waitcnt lgkmcnt(0)
	v_mov_b32_e32 v21, v5
	v_mov_b32_e32 v24, v6
	;; [unrolled: 1-line block ×7, first 2 shown]
	; wave barrier
	s_cbranch_scc0 .LBB85_28
.LBB85_3:                               ; =>This Inner Loop Header: Depth=1
	ds_bpermute_b32 v0, v26, v23
	ds_bpermute_b32 v1, v26, v34
	;; [unrolled: 1-line block ×4, first 2 shown]
	s_and_saveexec_b64 s[10:11], vcc
	s_or_b64 exec, exec, s[10:11]
	ds_bpermute_b32 v4, v26, v22
	ds_bpermute_b32 v5, v26, v21
	;; [unrolled: 1-line block ×4, first 2 shown]
	s_and_saveexec_b64 s[10:11], s[8:9]
	s_cbranch_execz .LBB85_5
; %bb.4:                                ;   in Loop: Header=BB85_3 Depth=1
	s_waitcnt lgkmcnt(2)
	v_mov_b64_e32 v[0:1], v[4:5]
	s_waitcnt lgkmcnt(0)
	v_mov_b64_e32 v[2:3], v[6:7]
.LBB85_5:                               ;   in Loop: Header=BB85_3 Depth=1
	s_or_b64 exec, exec, s[10:11]
	s_waitcnt lgkmcnt(3)
	ds_bpermute_b32 v4, v26, v20
	s_waitcnt lgkmcnt(3)
	ds_bpermute_b32 v5, v26, v19
	s_waitcnt lgkmcnt(3)
	ds_bpermute_b32 v6, v26, v32
	s_waitcnt lgkmcnt(3)
	ds_bpermute_b32 v7, v26, v33
	s_and_saveexec_b64 s[10:11], s[4:5]
	s_cbranch_execz .LBB85_7
; %bb.6:                                ;   in Loop: Header=BB85_3 Depth=1
	s_waitcnt lgkmcnt(2)
	v_mov_b64_e32 v[0:1], v[4:5]
	s_waitcnt lgkmcnt(0)
	v_mov_b64_e32 v[2:3], v[6:7]
.LBB85_7:                               ;   in Loop: Header=BB85_3 Depth=1
	s_or_b64 exec, exec, s[10:11]
	s_waitcnt lgkmcnt(3)
	ds_bpermute_b32 v4, v26, v18
	s_waitcnt lgkmcnt(3)
	ds_bpermute_b32 v5, v26, v17
	s_waitcnt lgkmcnt(3)
	ds_bpermute_b32 v6, v26, v30
	s_waitcnt lgkmcnt(3)
	ds_bpermute_b32 v7, v26, v31
	;; [unrolled: 17-line block ×3, first 2 shown]
	s_and_saveexec_b64 s[10:11], vcc
	s_or_b64 exec, exec, s[10:11]
	ds_bpermute_b32 v8, v27, v22
	ds_bpermute_b32 v9, v27, v21
	;; [unrolled: 1-line block ×4, first 2 shown]
	s_and_saveexec_b64 s[10:11], s[8:9]
	s_cbranch_execz .LBB85_11
; %bb.10:                               ;   in Loop: Header=BB85_3 Depth=1
	s_waitcnt lgkmcnt(2)
	v_mov_b64_e32 v[4:5], v[8:9]
	s_waitcnt lgkmcnt(0)
	v_mov_b64_e32 v[6:7], v[10:11]
.LBB85_11:                              ;   in Loop: Header=BB85_3 Depth=1
	s_or_b64 exec, exec, s[10:11]
	s_waitcnt lgkmcnt(3)
	ds_bpermute_b32 v8, v27, v20
	s_waitcnt lgkmcnt(3)
	ds_bpermute_b32 v9, v27, v19
	s_waitcnt lgkmcnt(3)
	ds_bpermute_b32 v10, v27, v32
	s_waitcnt lgkmcnt(3)
	ds_bpermute_b32 v11, v27, v33
	s_and_saveexec_b64 s[10:11], s[4:5]
	s_cbranch_execz .LBB85_13
; %bb.12:                               ;   in Loop: Header=BB85_3 Depth=1
	s_waitcnt lgkmcnt(2)
	v_mov_b64_e32 v[4:5], v[8:9]
	s_waitcnt lgkmcnt(0)
	v_mov_b64_e32 v[6:7], v[10:11]
.LBB85_13:                              ;   in Loop: Header=BB85_3 Depth=1
	s_or_b64 exec, exec, s[10:11]
	s_waitcnt lgkmcnt(3)
	ds_bpermute_b32 v8, v27, v18
	s_waitcnt lgkmcnt(3)
	ds_bpermute_b32 v9, v27, v17
	s_waitcnt lgkmcnt(3)
	ds_bpermute_b32 v10, v27, v30
	s_waitcnt lgkmcnt(3)
	ds_bpermute_b32 v11, v27, v31
	;; [unrolled: 17-line block ×3, first 2 shown]
	s_and_saveexec_b64 s[10:11], vcc
	s_or_b64 exec, exec, s[10:11]
	ds_bpermute_b32 v12, v28, v22
	ds_bpermute_b32 v13, v28, v21
	;; [unrolled: 1-line block ×4, first 2 shown]
	s_and_saveexec_b64 s[10:11], s[8:9]
	s_cbranch_execz .LBB85_17
; %bb.16:                               ;   in Loop: Header=BB85_3 Depth=1
	s_waitcnt lgkmcnt(2)
	v_mov_b64_e32 v[8:9], v[12:13]
	s_waitcnt lgkmcnt(0)
	v_mov_b64_e32 v[10:11], v[14:15]
.LBB85_17:                              ;   in Loop: Header=BB85_3 Depth=1
	s_or_b64 exec, exec, s[10:11]
	s_waitcnt lgkmcnt(3)
	ds_bpermute_b32 v12, v28, v20
	s_waitcnt lgkmcnt(3)
	ds_bpermute_b32 v13, v28, v19
	s_waitcnt lgkmcnt(3)
	ds_bpermute_b32 v14, v28, v32
	s_waitcnt lgkmcnt(3)
	ds_bpermute_b32 v15, v28, v33
	s_and_saveexec_b64 s[10:11], s[4:5]
	s_cbranch_execz .LBB85_19
; %bb.18:                               ;   in Loop: Header=BB85_3 Depth=1
	s_waitcnt lgkmcnt(2)
	v_mov_b64_e32 v[8:9], v[12:13]
	s_waitcnt lgkmcnt(0)
	v_mov_b64_e32 v[10:11], v[14:15]
.LBB85_19:                              ;   in Loop: Header=BB85_3 Depth=1
	s_or_b64 exec, exec, s[10:11]
	s_waitcnt lgkmcnt(3)
	ds_bpermute_b32 v12, v28, v18
	s_waitcnt lgkmcnt(3)
	ds_bpermute_b32 v13, v28, v17
	s_waitcnt lgkmcnt(3)
	ds_bpermute_b32 v14, v28, v30
	s_waitcnt lgkmcnt(3)
	ds_bpermute_b32 v15, v28, v31
	;; [unrolled: 17-line block ×3, first 2 shown]
	s_and_saveexec_b64 s[10:11], vcc
	s_or_b64 exec, exec, s[10:11]
	ds_bpermute_b32 v22, v29, v22
	ds_bpermute_b32 v23, v29, v21
	;; [unrolled: 1-line block ×4, first 2 shown]
	s_and_saveexec_b64 s[10:11], s[8:9]
	s_cbranch_execz .LBB85_23
; %bb.22:                               ;   in Loop: Header=BB85_3 Depth=1
	s_waitcnt lgkmcnt(2)
	v_mov_b64_e32 v[12:13], v[22:23]
	s_waitcnt lgkmcnt(0)
	v_mov_b64_e32 v[14:15], v[24:25]
.LBB85_23:                              ;   in Loop: Header=BB85_3 Depth=1
	s_or_b64 exec, exec, s[10:11]
	ds_bpermute_b32 v20, v29, v20
	ds_bpermute_b32 v21, v29, v19
	s_waitcnt lgkmcnt(5)
	ds_bpermute_b32 v22, v29, v32
	s_waitcnt lgkmcnt(5)
	ds_bpermute_b32 v23, v29, v33
	s_and_saveexec_b64 s[10:11], s[4:5]
	s_cbranch_execz .LBB85_25
; %bb.24:                               ;   in Loop: Header=BB85_3 Depth=1
	s_waitcnt lgkmcnt(2)
	v_mov_b64_e32 v[12:13], v[20:21]
	s_waitcnt lgkmcnt(0)
	v_mov_b64_e32 v[14:15], v[22:23]
.LBB85_25:                              ;   in Loop: Header=BB85_3 Depth=1
	s_or_b64 exec, exec, s[10:11]
	ds_bpermute_b32 v18, v29, v18
	ds_bpermute_b32 v19, v29, v17
	s_waitcnt lgkmcnt(5)
	ds_bpermute_b32 v20, v29, v30
	s_waitcnt lgkmcnt(5)
	ds_bpermute_b32 v21, v29, v31
	s_and_saveexec_b64 s[10:11], s[6:7]
	s_cbranch_execz .LBB85_2
; %bb.26:                               ;   in Loop: Header=BB85_3 Depth=1
	s_waitcnt lgkmcnt(2)
	v_mov_b64_e32 v[12:13], v[18:19]
	s_waitcnt lgkmcnt(0)
	v_mov_b64_e32 v[14:15], v[20:21]
	s_branch .LBB85_2
.LBB85_27:
	v_mov_b64_e32 v[2:3], 0
	v_mov_b32_e32 v23, v17
	v_mov_b32_e32 v21, v17
	;; [unrolled: 1-line block ×3, first 2 shown]
	v_mov_b64_e32 v[14:15], 0
	v_mov_b64_e32 v[0:1], v[16:17]
	;; [unrolled: 1-line block ×7, first 2 shown]
.LBB85_28:
	s_load_dwordx2 s[0:1], s[0:1], 0x0
	v_lshl_or_b32 v16, s2, 10, v16
	v_mov_b32_e32 v17, 0
	s_waitcnt lgkmcnt(0)
	v_lshl_add_u64 v[16:17], v[16:17], 4, s[0:1]
	global_store_dwordx4 v[16:17], v[0:3], off
	global_store_dwordx4 v[16:17], v[4:7], off offset:16
	global_store_dwordx4 v[16:17], v[8:11], off offset:32
	;; [unrolled: 1-line block ×3, first 2 shown]
	s_endpgm
	.section	.rodata,"a",@progbits
	.p2align	6, 0x0
	.amdhsa_kernel _Z20warp_exchange_kernelILj256ELj4ELj32EN6common25StripedToBlockedShuffleOpEoEvPT3_j
		.amdhsa_group_segment_fixed_size 0
		.amdhsa_private_segment_fixed_size 0
		.amdhsa_kernarg_size 12
		.amdhsa_user_sgpr_count 2
		.amdhsa_user_sgpr_dispatch_ptr 0
		.amdhsa_user_sgpr_queue_ptr 0
		.amdhsa_user_sgpr_kernarg_segment_ptr 1
		.amdhsa_user_sgpr_dispatch_id 0
		.amdhsa_user_sgpr_kernarg_preload_length 0
		.amdhsa_user_sgpr_kernarg_preload_offset 0
		.amdhsa_user_sgpr_private_segment_size 0
		.amdhsa_uses_dynamic_stack 0
		.amdhsa_enable_private_segment 0
		.amdhsa_system_sgpr_workgroup_id_x 1
		.amdhsa_system_sgpr_workgroup_id_y 0
		.amdhsa_system_sgpr_workgroup_id_z 0
		.amdhsa_system_sgpr_workgroup_info 0
		.amdhsa_system_vgpr_workitem_id 0
		.amdhsa_next_free_vgpr 37
		.amdhsa_next_free_sgpr 12
		.amdhsa_accum_offset 40
		.amdhsa_reserve_vcc 1
		.amdhsa_float_round_mode_32 0
		.amdhsa_float_round_mode_16_64 0
		.amdhsa_float_denorm_mode_32 3
		.amdhsa_float_denorm_mode_16_64 3
		.amdhsa_dx10_clamp 1
		.amdhsa_ieee_mode 1
		.amdhsa_fp16_overflow 0
		.amdhsa_tg_split 0
		.amdhsa_exception_fp_ieee_invalid_op 0
		.amdhsa_exception_fp_denorm_src 0
		.amdhsa_exception_fp_ieee_div_zero 0
		.amdhsa_exception_fp_ieee_overflow 0
		.amdhsa_exception_fp_ieee_underflow 0
		.amdhsa_exception_fp_ieee_inexact 0
		.amdhsa_exception_int_div_zero 0
	.end_amdhsa_kernel
	.section	.text._Z20warp_exchange_kernelILj256ELj4ELj32EN6common25StripedToBlockedShuffleOpEoEvPT3_j,"axG",@progbits,_Z20warp_exchange_kernelILj256ELj4ELj32EN6common25StripedToBlockedShuffleOpEoEvPT3_j,comdat
.Lfunc_end85:
	.size	_Z20warp_exchange_kernelILj256ELj4ELj32EN6common25StripedToBlockedShuffleOpEoEvPT3_j, .Lfunc_end85-_Z20warp_exchange_kernelILj256ELj4ELj32EN6common25StripedToBlockedShuffleOpEoEvPT3_j
                                        ; -- End function
	.section	.AMDGPU.csdata,"",@progbits
; Kernel info:
; codeLenInByte = 1428
; NumSgprs: 18
; NumVgprs: 37
; NumAgprs: 0
; TotalNumVgprs: 37
; ScratchSize: 0
; MemoryBound: 0
; FloatMode: 240
; IeeeMode: 1
; LDSByteSize: 0 bytes/workgroup (compile time only)
; SGPRBlocks: 2
; VGPRBlocks: 4
; NumSGPRsForWavesPerEU: 18
; NumVGPRsForWavesPerEU: 37
; AccumOffset: 40
; Occupancy: 8
; WaveLimiterHint : 0
; COMPUTE_PGM_RSRC2:SCRATCH_EN: 0
; COMPUTE_PGM_RSRC2:USER_SGPR: 2
; COMPUTE_PGM_RSRC2:TRAP_HANDLER: 0
; COMPUTE_PGM_RSRC2:TGID_X_EN: 1
; COMPUTE_PGM_RSRC2:TGID_Y_EN: 0
; COMPUTE_PGM_RSRC2:TGID_Z_EN: 0
; COMPUTE_PGM_RSRC2:TIDIG_COMP_CNT: 0
; COMPUTE_PGM_RSRC3_GFX90A:ACCUM_OFFSET: 9
; COMPUTE_PGM_RSRC3_GFX90A:TG_SPLIT: 0
	.section	.text._Z20warp_exchange_kernelILj256ELj16ELj16EN6common25StripedToBlockedShuffleOpEoEvPT3_j,"axG",@progbits,_Z20warp_exchange_kernelILj256ELj16ELj16EN6common25StripedToBlockedShuffleOpEoEvPT3_j,comdat
	.protected	_Z20warp_exchange_kernelILj256ELj16ELj16EN6common25StripedToBlockedShuffleOpEoEvPT3_j ; -- Begin function _Z20warp_exchange_kernelILj256ELj16ELj16EN6common25StripedToBlockedShuffleOpEoEvPT3_j
	.globl	_Z20warp_exchange_kernelILj256ELj16ELj16EN6common25StripedToBlockedShuffleOpEoEvPT3_j
	.p2align	8
	.type	_Z20warp_exchange_kernelILj256ELj16ELj16EN6common25StripedToBlockedShuffleOpEoEvPT3_j,@function
_Z20warp_exchange_kernelILj256ELj16ELj16EN6common25StripedToBlockedShuffleOpEoEvPT3_j: ; @_Z20warp_exchange_kernelILj256ELj16ELj16EN6common25StripedToBlockedShuffleOpEoEvPT3_j
; %bb.0:
	s_load_dword s3, s[0:1], 0x8
	v_lshlrev_b32_e32 v64, 4, v0
	v_or_b32_e32 v56, 1, v64
	v_or_b32_e32 v52, 2, v64
	;; [unrolled: 1-line block ×14, first 2 shown]
	s_waitcnt lgkmcnt(0)
	s_cmp_eq_u32 s3, 0
	v_or_b32_e32 v0, 15, v64
	s_cbranch_scc1 .LBB86_3
; %bb.1:
	v_mbcnt_lo_u32_b32 v6, -1, 0
	v_mbcnt_hi_u32_b32 v6, -1, v6
	v_and_b32_e32 v7, 8, v6
	v_lshlrev_b32_e32 v10, 4, v7
	v_xor_b32_e32 v10, 0x80, v10
	v_and_b32_e32 v29, 4, v6
	v_mov_b32_e32 v11, 0
	v_add_u32_e32 v66, 0, v10
	v_mov_b32_e32 v10, 0x90
	v_cmp_eq_u32_e32 vcc, 0, v7
	v_mov_b32_e32 v7, 0xa0
	v_mov_b32_e32 v14, 0xb0
	;; [unrolled: 1-line block ×9, first 2 shown]
	v_lshlrev_b32_e32 v30, 4, v29
	v_mov_b32_e32 v1, 0
	v_cndmask_b32_e32 v67, 16, v10, vcc
	v_cndmask_b32_e32 v68, 32, v7, vcc
	;; [unrolled: 1-line block ×7, first 2 shown]
	v_xad_u32 v74, v30, 64, v11
	v_cmp_eq_u32_e32 vcc, 0, v29
	v_mov_b32_e32 v29, 0x80
	v_and_b32_e32 v30, 2, v6
	v_and_b32_e32 v6, 1, v6
	v_mov_b64_e32 v[2:3], 0
	v_mov_b32_e32 v65, v1
	v_cndmask_b32_e32 v75, 16, v18, vcc
	v_cndmask_b32_e32 v76, 32, v22, vcc
	;; [unrolled: 1-line block ×7, first 2 shown]
	v_lshlrev_b32_e32 v31, 4, v30
	v_cmp_eq_u32_e32 vcc, 0, v30
	v_lshlrev_b32_e32 v30, 4, v6
	v_cmp_eq_u32_e64 s[4:5], 0, v6
	v_mov_b32_e32 v5, v1
	v_mov_b32_e32 v9, v1
	;; [unrolled: 1-line block ×7, first 2 shown]
	v_xad_u32 v82, v31, 32, v11
	v_cndmask_b32_e32 v83, 64, v22, vcc
	v_cndmask_b32_e32 v84, v18, v26, vcc
	v_xad_u32 v85, v30, 16, v11
	v_cndmask_b32_e32 v86, v29, v7, vcc
	v_cndmask_b32_e64 v87, v22, v26, s[4:5]
	v_cndmask_b32_e32 v88, v10, v14, vcc
	v_cndmask_b32_e64 v89, v29, v10, s[4:5]
	;; [unrolled: 2-line block ×4, first 2 shown]
	v_cndmask_b32_e64 v94, v15, v19, s[4:5]
	v_cndmask_b32_e64 v95, v23, v27, s[4:5]
	v_mov_b64_e32 v[6:7], v[2:3]
	v_mov_b64_e32 v[10:11], v[2:3]
	;; [unrolled: 1-line block ×7, first 2 shown]
	v_mov_b32_e32 v29, v1
	v_mov_b64_e32 v[30:31], v[2:3]
	v_mov_b32_e32 v33, v1
	v_mov_b64_e32 v[34:35], v[2:3]
	v_mov_b32_e32 v41, v1
	v_mov_b64_e32 v[42:43], v[2:3]
	v_mov_b32_e32 v49, v1
	v_mov_b64_e32 v[50:51], v[2:3]
	v_mov_b32_e32 v45, v1
	v_mov_b64_e32 v[46:47], v[2:3]
	v_mov_b32_e32 v53, v1
	v_mov_b64_e32 v[54:55], v[2:3]
	v_mov_b32_e32 v57, v1
	v_mov_b64_e32 v[58:59], v[2:3]
	v_mov_b64_e32 v[62:63], 0
	v_mov_b64_e32 v[60:61], v[64:65]
	v_cndmask_b32_e64 v65, 16, 48, vcc
	v_cndmask_b32_e64 v96, 32, 48, s[4:5]
.LBB86_2:                               ; =>This Inner Loop Header: Depth=1
	s_waitcnt vmcnt(13)
	scratch_store_dwordx4 off, v[60:63], off
	s_waitcnt vmcnt(13)
	scratch_store_dwordx4 off, v[56:59], off offset:16
	s_waitcnt vmcnt(13)
	scratch_store_dwordx4 off, v[52:55], off offset:32
	scratch_store_dwordx4 off, v[44:47], off offset:48
	;; [unrolled: 1-line block ×6, first 2 shown]
	s_waitcnt vmcnt(18)
	scratch_store_dwordx4 off, v[36:39], off offset:128
	scratch_load_dwordx4 v[28:31], v66, off
	s_add_i32 s3, s3, -1
	s_waitcnt vmcnt(19)
	scratch_store_dwordx4 off, v[24:27], off offset:144
	s_waitcnt vmcnt(18)
	scratch_store_dwordx4 off, v[20:23], off offset:160
	;; [unrolled: 2-line block ×5, first 2 shown]
	s_cmp_lg_u32 s3, 0
	s_waitcnt vmcnt(5)
	ds_swizzle_b32 v24, v28 offset:swizzle(SWAP,8)
	ds_swizzle_b32 v25, v29 offset:swizzle(SWAP,8)
	ds_swizzle_b32 v26, v30 offset:swizzle(SWAP,8)
	ds_swizzle_b32 v27, v31 offset:swizzle(SWAP,8)
	s_waitcnt lgkmcnt(0)
	scratch_store_dwordx4 v66, v[24:27], off
	scratch_load_dwordx4 v[24:27], v67, off
	s_waitcnt vmcnt(0)
	ds_swizzle_b32 v20, v24 offset:swizzle(SWAP,8)
	ds_swizzle_b32 v21, v25 offset:swizzle(SWAP,8)
	ds_swizzle_b32 v22, v26 offset:swizzle(SWAP,8)
	ds_swizzle_b32 v23, v27 offset:swizzle(SWAP,8)
	s_waitcnt lgkmcnt(0)
	scratch_store_dwordx4 v67, v[20:23], off
	scratch_load_dwordx4 v[20:23], v68, off
	;; [unrolled: 8-line block ×5, first 2 shown]
	s_nop 0
	scratch_load_dwordx4 v[12:15], v74, off
	s_nop 0
	scratch_store_dwordx4 off, v[4:7], off offset:224
	s_waitcnt vmcnt(2)
	ds_swizzle_b32 v4, v8 offset:swizzle(SWAP,8)
	ds_swizzle_b32 v5, v9 offset:swizzle(SWAP,8)
	ds_swizzle_b32 v6, v10 offset:swizzle(SWAP,8)
	ds_swizzle_b32 v7, v11 offset:swizzle(SWAP,8)
	s_waitcnt vmcnt(1)
	ds_swizzle_b32 v8, v12 offset:swizzle(SWAP,4)
	ds_swizzle_b32 v9, v13 offset:swizzle(SWAP,4)
	;; [unrolled: 1-line block ×4, first 2 shown]
	s_waitcnt lgkmcnt(4)
	scratch_store_dwordx4 v71, v[4:7], off
	s_waitcnt lgkmcnt(0)
	scratch_store_dwordx4 v74, v[8:11], off
	scratch_load_dwordx4 v[4:7], v72, off
	s_nop 0
	scratch_load_dwordx4 v[8:11], v75, off
	s_nop 0
	scratch_store_dwordx4 off, v[0:3], off offset:240
	s_waitcnt vmcnt(2)
	ds_swizzle_b32 v0, v4 offset:swizzle(SWAP,8)
	ds_swizzle_b32 v1, v5 offset:swizzle(SWAP,8)
	ds_swizzle_b32 v2, v6 offset:swizzle(SWAP,8)
	ds_swizzle_b32 v3, v7 offset:swizzle(SWAP,8)
	s_waitcnt vmcnt(1)
	ds_swizzle_b32 v4, v8 offset:swizzle(SWAP,4)
	ds_swizzle_b32 v5, v9 offset:swizzle(SWAP,4)
	;; [unrolled: 1-line block ×4, first 2 shown]
	s_waitcnt lgkmcnt(4)
	scratch_store_dwordx4 v72, v[0:3], off
	s_waitcnt lgkmcnt(0)
	scratch_store_dwordx4 v75, v[4:7], off
	scratch_load_dwordx4 v[0:3], v73, off
	s_nop 0
	scratch_load_dwordx4 v[4:7], v76, off
	s_waitcnt vmcnt(1)
	ds_swizzle_b32 v0, v0 offset:swizzle(SWAP,8)
	ds_swizzle_b32 v1, v1 offset:swizzle(SWAP,8)
	;; [unrolled: 1-line block ×4, first 2 shown]
	s_waitcnt vmcnt(0)
	ds_swizzle_b32 v4, v4 offset:swizzle(SWAP,4)
	ds_swizzle_b32 v5, v5 offset:swizzle(SWAP,4)
	;; [unrolled: 1-line block ×4, first 2 shown]
	s_waitcnt lgkmcnt(4)
	scratch_store_dwordx4 v73, v[0:3], off
	s_waitcnt lgkmcnt(0)
	scratch_store_dwordx4 v76, v[4:7], off
	scratch_load_dwordx4 v[0:3], v78, off
	s_nop 0
	scratch_load_dwordx4 v[4:7], v77, off
	s_waitcnt vmcnt(1)
	ds_swizzle_b32 v0, v0 offset:swizzle(SWAP,4)
	ds_swizzle_b32 v1, v1 offset:swizzle(SWAP,4)
	;; [unrolled: 1-line block ×4, first 2 shown]
	s_waitcnt vmcnt(0)
	ds_swizzle_b32 v4, v4 offset:swizzle(SWAP,4)
	ds_swizzle_b32 v5, v5 offset:swizzle(SWAP,4)
	ds_swizzle_b32 v6, v6 offset:swizzle(SWAP,4)
	ds_swizzle_b32 v7, v7 offset:swizzle(SWAP,4)
	s_waitcnt lgkmcnt(4)
	scratch_store_dwordx4 v78, v[0:3], off
	scratch_load_dwordx4 v[0:3], v79, off
	s_nop 0
	scratch_load_dwordx4 v[8:11], v82, off
	s_waitcnt vmcnt(1)
	ds_swizzle_b32 v0, v0 offset:swizzle(SWAP,4)
	ds_swizzle_b32 v1, v1 offset:swizzle(SWAP,4)
	;; [unrolled: 1-line block ×4, first 2 shown]
	s_waitcnt lgkmcnt(4)
	scratch_store_dwordx4 v77, v[4:7], off
	s_waitcnt vmcnt(1)
	ds_swizzle_b32 v4, v8 offset:swizzle(SWAP,2)
	ds_swizzle_b32 v5, v9 offset:swizzle(SWAP,2)
	;; [unrolled: 1-line block ×3, first 2 shown]
	s_waitcnt lgkmcnt(3)
	scratch_store_dwordx4 v79, v[0:3], off
	scratch_load_dwordx4 v[0:3], v80, off
	ds_swizzle_b32 v7, v11 offset:swizzle(SWAP,2)
	s_waitcnt lgkmcnt(0)
	scratch_store_dwordx4 v82, v[4:7], off
	scratch_load_dwordx4 v[4:7], v65, off
	s_waitcnt vmcnt(2)
	ds_swizzle_b32 v0, v0 offset:swizzle(SWAP,4)
	ds_swizzle_b32 v1, v1 offset:swizzle(SWAP,4)
	;; [unrolled: 1-line block ×4, first 2 shown]
	s_waitcnt vmcnt(0)
	ds_swizzle_b32 v4, v4 offset:swizzle(SWAP,2)
	s_waitcnt lgkmcnt(1)
	scratch_store_dwordx4 v80, v[0:3], off
	scratch_load_dwordx4 v[0:3], v83, off
	s_nop 0
	scratch_load_dwordx4 v[8:11], v81, off
	ds_swizzle_b32 v5, v5 offset:swizzle(SWAP,2)
	ds_swizzle_b32 v6, v6 offset:swizzle(SWAP,2)
	;; [unrolled: 1-line block ×3, first 2 shown]
	s_waitcnt vmcnt(1)
	ds_swizzle_b32 v0, v0 offset:swizzle(SWAP,2)
	ds_swizzle_b32 v1, v1 offset:swizzle(SWAP,2)
	;; [unrolled: 1-line block ×4, first 2 shown]
	s_waitcnt vmcnt(0)
	ds_swizzle_b32 v8, v8 offset:swizzle(SWAP,4)
	ds_swizzle_b32 v9, v9 offset:swizzle(SWAP,4)
	;; [unrolled: 1-line block ×4, first 2 shown]
	s_waitcnt lgkmcnt(4)
	scratch_store_dwordx4 v83, v[0:3], off
	scratch_load_dwordx4 v[0:3], v86, off
	s_nop 0
	scratch_load_dwordx4 v[12:15], v84, off
	s_waitcnt vmcnt(1)
	ds_swizzle_b32 v0, v0 offset:swizzle(SWAP,2)
	ds_swizzle_b32 v1, v1 offset:swizzle(SWAP,2)
	;; [unrolled: 1-line block ×4, first 2 shown]
	s_waitcnt lgkmcnt(4)
	scratch_store_dwordx4 v81, v[8:11], off
	s_waitcnt vmcnt(1)
	ds_swizzle_b32 v12, v12 offset:swizzle(SWAP,2)
	ds_swizzle_b32 v13, v13 offset:swizzle(SWAP,2)
	;; [unrolled: 1-line block ×3, first 2 shown]
	s_waitcnt lgkmcnt(3)
	scratch_store_dwordx4 v86, v[0:3], off
	scratch_load_dwordx4 v[0:3], v90, off
	s_nop 0
	scratch_load_dwordx4 v[8:11], v88, off
	ds_swizzle_b32 v15, v15 offset:swizzle(SWAP,2)
	scratch_store_dwordx4 v65, v[4:7], off
	scratch_load_dwordx4 v[4:7], v96, off
	s_waitcnt vmcnt(3)
	ds_swizzle_b32 v0, v0 offset:swizzle(SWAP,2)
	ds_swizzle_b32 v1, v1 offset:swizzle(SWAP,2)
	;; [unrolled: 1-line block ×4, first 2 shown]
	s_waitcnt lgkmcnt(4)
	scratch_store_dwordx4 v84, v[12:15], off
	s_waitcnt vmcnt(3)
	ds_swizzle_b32 v8, v8 offset:swizzle(SWAP,2)
	ds_swizzle_b32 v9, v9 offset:swizzle(SWAP,2)
	;; [unrolled: 1-line block ×3, first 2 shown]
	s_waitcnt lgkmcnt(3)
	scratch_store_dwordx4 v90, v[0:3], off
	scratch_load_dwordx4 v[0:3], v92, off
	s_nop 0
	scratch_load_dwordx4 v[12:15], v93, off
	scratch_load_dwordx4 v[16:19], v87, off
	ds_swizzle_b32 v11, v11 offset:swizzle(SWAP,2)
	s_waitcnt vmcnt(5)
	ds_swizzle_b32 v4, v4 offset:swizzle(SWAP,1)
	ds_swizzle_b32 v5, v5 offset:swizzle(SWAP,1)
	;; [unrolled: 1-line block ×4, first 2 shown]
	s_waitcnt lgkmcnt(4)
	scratch_store_dwordx4 v88, v[8:11], off
	scratch_load_dwordx4 v[8:11], v85, off
	s_nop 0
	scratch_load_dwordx4 v[20:23], v89, off
	scratch_load_dwordx4 v[24:27], v91, off
	s_waitcnt vmcnt(6)
	ds_swizzle_b32 v0, v0 offset:swizzle(SWAP,2)
	ds_swizzle_b32 v1, v1 offset:swizzle(SWAP,2)
	;; [unrolled: 1-line block ×4, first 2 shown]
	s_waitcnt lgkmcnt(0)
	scratch_store_dwordx4 v92, v[0:3], off
	scratch_load_dwordx4 v[0:3], v94, off
	s_nop 0
	scratch_load_dwordx4 v[98:101], v95, off
	s_waitcnt vmcnt(1)
	ds_swizzle_b32 v0, v0 offset:swizzle(SWAP,1)
	scratch_store_dwordx4 v96, v[4:7], off
	ds_swizzle_b32 v4, v12 offset:swizzle(SWAP,1)
	ds_swizzle_b32 v5, v13 offset:swizzle(SWAP,1)
	;; [unrolled: 1-line block ×4, first 2 shown]
	scratch_load_dwordx4 v[44:47], off, off offset:48
	ds_swizzle_b32 v1, v1 offset:swizzle(SWAP,1)
	ds_swizzle_b32 v2, v2 offset:swizzle(SWAP,1)
	;; [unrolled: 1-line block ×3, first 2 shown]
	s_waitcnt lgkmcnt(3)
	scratch_store_dwordx4 v93, v[4:7], off
	ds_swizzle_b32 v4, v16 offset:swizzle(SWAP,1)
	ds_swizzle_b32 v5, v17 offset:swizzle(SWAP,1)
	;; [unrolled: 1-line block ×4, first 2 shown]
	scratch_load_dwordx4 v[48:51], off, off offset:64
	scratch_load_dwordx4 v[40:43], off, off offset:80
	s_waitcnt lgkmcnt(0)
	scratch_store_dwordx4 v87, v[4:7], off
	ds_swizzle_b32 v4, v8 offset:swizzle(SWAP,1)
	ds_swizzle_b32 v5, v9 offset:swizzle(SWAP,1)
	;; [unrolled: 1-line block ×8, first 2 shown]
	scratch_load_dwordx4 v[32:35], off, off offset:96
	scratch_load_dwordx4 v[28:31], off, off offset:112
	s_waitcnt lgkmcnt(4)
	scratch_store_dwordx4 v85, v[4:7], off
	s_waitcnt lgkmcnt(0)
	scratch_store_dwordx4 v89, v[8:11], off
	ds_swizzle_b32 v4, v24 offset:swizzle(SWAP,1)
	ds_swizzle_b32 v5, v25 offset:swizzle(SWAP,1)
	;; [unrolled: 1-line block ×4, first 2 shown]
	scratch_load_dwordx4 v[60:63], off, off
	scratch_load_dwordx4 v[56:59], off, off offset:16
	scratch_load_dwordx4 v[52:55], off, off offset:32
	;; [unrolled: 1-line block ×4, first 2 shown]
	s_waitcnt lgkmcnt(0)
	scratch_store_dwordx4 v91, v[4:7], off
	s_waitcnt vmcnt(16)
	ds_swizzle_b32 v4, v98 offset:swizzle(SWAP,1)
	ds_swizzle_b32 v5, v99 offset:swizzle(SWAP,1)
	;; [unrolled: 1-line block ×4, first 2 shown]
	scratch_load_dwordx4 v[20:23], off, off offset:160
	scratch_load_dwordx4 v[12:15], off, off offset:176
	s_nop 0
	scratch_store_dwordx4 v94, v[0:3], off
	s_waitcnt lgkmcnt(0)
	scratch_store_dwordx4 v95, v[4:7], off
	scratch_load_dwordx4 v[16:19], off, off offset:192
	scratch_load_dwordx4 v[8:11], off, off offset:208
	s_nop 0
	scratch_load_dwordx4 v[4:7], off, off offset:224
	scratch_load_dwordx4 v[0:3], off, off offset:240
	; wave barrier
	s_cbranch_scc1 .LBB86_2
	s_branch .LBB86_4
.LBB86_3:
	v_mov_b32_e32 v65, 0
	v_mov_b64_e32 v[62:63], 0
	v_mov_b64_e32 v[2:3], 0
	v_mov_b32_e32 v57, v65
	v_mov_b32_e32 v53, v65
	v_mov_b32_e32 v45, v65
	v_mov_b32_e32 v49, v65
	v_mov_b32_e32 v41, v65
	v_mov_b32_e32 v33, v65
	v_mov_b32_e32 v29, v65
	v_mov_b32_e32 v37, v65
	v_mov_b32_e32 v25, v65
	v_mov_b32_e32 v21, v65
	v_mov_b32_e32 v13, v65
	v_mov_b32_e32 v17, v65
	v_mov_b32_e32 v1, v65
	v_mov_b64_e32 v[60:61], v[64:65]
	v_mov_b64_e32 v[58:59], v[62:63]
	;; [unrolled: 1-line block ×13, first 2 shown]
	v_mov_b32_e32 v9, v65
	v_mov_b64_e32 v[10:11], v[62:63]
	v_mov_b32_e32 v5, v65
	v_mov_b64_e32 v[6:7], v[62:63]
.LBB86_4:
	s_load_dwordx2 s[0:1], s[0:1], 0x0
	v_lshl_or_b32 v64, s2, 12, v64
	v_mov_b32_e32 v65, 0
	s_waitcnt lgkmcnt(0)
	v_lshl_add_u64 v[64:65], v[64:65], 4, s[0:1]
	s_waitcnt vmcnt(13)
	global_store_dwordx4 v[64:65], v[60:63], off
	s_waitcnt vmcnt(13)
	global_store_dwordx4 v[64:65], v[56:59], off offset:16
	s_waitcnt vmcnt(13)
	global_store_dwordx4 v[64:65], v[52:55], off offset:32
	global_store_dwordx4 v[64:65], v[44:47], off offset:48
	;; [unrolled: 1-line block ×6, first 2 shown]
	s_waitcnt vmcnt(18)
	global_store_dwordx4 v[64:65], v[36:39], off offset:128
	s_waitcnt vmcnt(18)
	global_store_dwordx4 v[64:65], v[24:27], off offset:144
	;; [unrolled: 2-line block ×8, first 2 shown]
	s_endpgm
	.section	.rodata,"a",@progbits
	.p2align	6, 0x0
	.amdhsa_kernel _Z20warp_exchange_kernelILj256ELj16ELj16EN6common25StripedToBlockedShuffleOpEoEvPT3_j
		.amdhsa_group_segment_fixed_size 0
		.amdhsa_private_segment_fixed_size 272
		.amdhsa_kernarg_size 12
		.amdhsa_user_sgpr_count 2
		.amdhsa_user_sgpr_dispatch_ptr 0
		.amdhsa_user_sgpr_queue_ptr 0
		.amdhsa_user_sgpr_kernarg_segment_ptr 1
		.amdhsa_user_sgpr_dispatch_id 0
		.amdhsa_user_sgpr_kernarg_preload_length 0
		.amdhsa_user_sgpr_kernarg_preload_offset 0
		.amdhsa_user_sgpr_private_segment_size 0
		.amdhsa_uses_dynamic_stack 0
		.amdhsa_enable_private_segment 1
		.amdhsa_system_sgpr_workgroup_id_x 1
		.amdhsa_system_sgpr_workgroup_id_y 0
		.amdhsa_system_sgpr_workgroup_id_z 0
		.amdhsa_system_sgpr_workgroup_info 0
		.amdhsa_system_vgpr_workitem_id 0
		.amdhsa_next_free_vgpr 102
		.amdhsa_next_free_sgpr 6
		.amdhsa_accum_offset 104
		.amdhsa_reserve_vcc 1
		.amdhsa_float_round_mode_32 0
		.amdhsa_float_round_mode_16_64 0
		.amdhsa_float_denorm_mode_32 3
		.amdhsa_float_denorm_mode_16_64 3
		.amdhsa_dx10_clamp 1
		.amdhsa_ieee_mode 1
		.amdhsa_fp16_overflow 0
		.amdhsa_tg_split 0
		.amdhsa_exception_fp_ieee_invalid_op 0
		.amdhsa_exception_fp_denorm_src 0
		.amdhsa_exception_fp_ieee_div_zero 0
		.amdhsa_exception_fp_ieee_overflow 0
		.amdhsa_exception_fp_ieee_underflow 0
		.amdhsa_exception_fp_ieee_inexact 0
		.amdhsa_exception_int_div_zero 0
	.end_amdhsa_kernel
	.section	.text._Z20warp_exchange_kernelILj256ELj16ELj16EN6common25StripedToBlockedShuffleOpEoEvPT3_j,"axG",@progbits,_Z20warp_exchange_kernelILj256ELj16ELj16EN6common25StripedToBlockedShuffleOpEoEvPT3_j,comdat
.Lfunc_end86:
	.size	_Z20warp_exchange_kernelILj256ELj16ELj16EN6common25StripedToBlockedShuffleOpEoEvPT3_j, .Lfunc_end86-_Z20warp_exchange_kernelILj256ELj16ELj16EN6common25StripedToBlockedShuffleOpEoEvPT3_j
                                        ; -- End function
	.section	.AMDGPU.csdata,"",@progbits
; Kernel info:
; codeLenInByte = 3024
; NumSgprs: 12
; NumVgprs: 102
; NumAgprs: 0
; TotalNumVgprs: 102
; ScratchSize: 272
; MemoryBound: 0
; FloatMode: 240
; IeeeMode: 1
; LDSByteSize: 0 bytes/workgroup (compile time only)
; SGPRBlocks: 1
; VGPRBlocks: 12
; NumSGPRsForWavesPerEU: 12
; NumVGPRsForWavesPerEU: 102
; AccumOffset: 104
; Occupancy: 4
; WaveLimiterHint : 0
; COMPUTE_PGM_RSRC2:SCRATCH_EN: 1
; COMPUTE_PGM_RSRC2:USER_SGPR: 2
; COMPUTE_PGM_RSRC2:TRAP_HANDLER: 0
; COMPUTE_PGM_RSRC2:TGID_X_EN: 1
; COMPUTE_PGM_RSRC2:TGID_Y_EN: 0
; COMPUTE_PGM_RSRC2:TGID_Z_EN: 0
; COMPUTE_PGM_RSRC2:TIDIG_COMP_CNT: 0
; COMPUTE_PGM_RSRC3_GFX90A:ACCUM_OFFSET: 25
; COMPUTE_PGM_RSRC3_GFX90A:TG_SPLIT: 0
	.section	.text._Z20warp_exchange_kernelILj256ELj16ELj32EN6common25StripedToBlockedShuffleOpEoEvPT3_j,"axG",@progbits,_Z20warp_exchange_kernelILj256ELj16ELj32EN6common25StripedToBlockedShuffleOpEoEvPT3_j,comdat
	.protected	_Z20warp_exchange_kernelILj256ELj16ELj32EN6common25StripedToBlockedShuffleOpEoEvPT3_j ; -- Begin function _Z20warp_exchange_kernelILj256ELj16ELj32EN6common25StripedToBlockedShuffleOpEoEvPT3_j
	.globl	_Z20warp_exchange_kernelILj256ELj16ELj32EN6common25StripedToBlockedShuffleOpEoEvPT3_j
	.p2align	8
	.type	_Z20warp_exchange_kernelILj256ELj16ELj32EN6common25StripedToBlockedShuffleOpEoEvPT3_j,@function
_Z20warp_exchange_kernelILj256ELj16ELj32EN6common25StripedToBlockedShuffleOpEoEvPT3_j: ; @_Z20warp_exchange_kernelILj256ELj16ELj32EN6common25StripedToBlockedShuffleOpEoEvPT3_j
; %bb.0:
	s_load_dword s3, s[0:1], 0x8
	v_lshlrev_b32_e32 v64, 4, v0
	v_or_b32_e32 v12, 1, v64
	v_or_b32_e32 v56, 2, v64
	;; [unrolled: 1-line block ×14, first 2 shown]
	s_waitcnt lgkmcnt(0)
	s_cmp_eq_u32 s3, 0
	v_or_b32_e32 v0, 15, v64
	s_cbranch_scc1 .LBB87_3
; %bb.1:
	v_mbcnt_lo_u32_b32 v6, -1, 0
	v_mbcnt_hi_u32_b32 v6, -1, v6
	v_and_b32_e32 v7, 0x60, v6
	v_add_u32_e32 v10, 28, v6
	v_and_or_b32 v10, v10, 31, v7
	v_lshlrev_b32_e32 v66, 2, v10
	v_add_u32_e32 v10, 24, v6
	v_and_or_b32 v10, v10, 31, v7
	v_lshlrev_b32_e32 v67, 2, v10
	;; [unrolled: 3-line block ×3, first 2 shown]
	v_lshlrev_b32_e32 v10, 2, v6
	v_xor_b32_e32 v69, 64, v10
	v_add_u32_e32 v10, 12, v6
	v_and_or_b32 v10, v10, 31, v7
	v_lshlrev_b32_e32 v70, 2, v10
	v_add_u32_e32 v10, 8, v6
	v_and_or_b32 v10, v10, 31, v7
	v_lshlrev_b32_e32 v71, 2, v10
	v_add_u32_e32 v10, 4, v6
	v_and_or_b32 v7, v10, 31, v7
	v_lshlrev_b32_e32 v72, 2, v7
	v_bfe_u32 v7, v6, 2, 3
	v_add_u32_e32 v11, 7, v7
	v_mov_b32_e32 v10, 0
	v_and_b32_e32 v13, 7, v11
	v_lshl_add_u32 v74, v13, 4, v10
	v_mov_b32_e32 v13, 0x80
	v_lshl_or_b32 v11, v11, 4, v13
	v_add_u32_e32 v75, 0, v11
	v_add_u32_e32 v11, 6, v7
	v_and_b32_e32 v14, 7, v11
	v_lshl_or_b32 v11, v11, 4, v13
	v_add_u32_e32 v77, 0, v11
	v_add_u32_e32 v11, 5, v7
	v_lshl_add_u32 v73, v7, 4, v10
	v_lshl_add_u32 v76, v14, 4, v10
	v_and_b32_e32 v14, 7, v11
	v_lshl_or_b32 v11, v11, 4, v13
	v_xor_b32_e32 v7, 4, v7
	v_add_u32_e32 v79, 0, v11
	v_add_u32_e32 v11, 7, v7
	v_lshl_add_u32 v78, v14, 4, v10
	v_and_b32_e32 v14, 7, v11
	v_lshl_or_b32 v11, v11, 4, v13
	v_add_u32_e32 v82, 0, v11
	v_add_u32_e32 v11, 6, v7
	v_lshl_add_u32 v80, v7, 4, v10
	v_lshl_add_u32 v81, v14, 4, v10
	v_and_b32_e32 v14, 7, v11
	v_lshl_or_b32 v11, v11, 4, v13
	v_add_u32_e32 v7, 5, v7
	v_add_u32_e32 v84, 0, v11
	v_and_b32_e32 v11, 7, v7
	v_lshl_or_b32 v7, v7, 4, v13
	v_add_u32_e32 v86, 0, v7
	v_and_b32_e32 v7, 3, v6
	v_add_u32_e32 v6, -1, v6
	v_lshl_add_u32 v83, v14, 4, v10
	v_lshl_add_u32 v85, v11, 4, v10
	v_mov_b32_e32 v10, 0x100
	v_and_b32_e32 v6, 3, v6
	v_lshl_add_u32 v88, v6, 4, v10
	v_xor_b32_e32 v6, 2, v7
	v_lshl_add_u32 v89, v6, 4, v10
	v_add_u32_e32 v6, 3, v6
	v_mov_b32_e32 v1, 0
	v_lshl_add_u32 v87, v7, 4, v10
	v_and_b32_e32 v7, 3, v6
	v_lshlrev_b32_e32 v6, 4, v6
	v_mov_b64_e32 v[2:3], 0
	v_mov_b32_e32 v65, v1
	v_lshl_add_u32 v90, v7, 4, v10
	v_or_b32_e32 v7, 64, v6
	v_or_b32_e32 v6, 0xc0, v6
	v_mov_b32_e32 v21, v1
	v_mov_b32_e32 v5, v1
	;; [unrolled: 1-line block ×8, first 2 shown]
	v_add_u32_e32 v91, 0x100, v7
	v_add_u32_e32 v92, 0x100, v6
	v_mov_b64_e32 v[22:23], v[2:3]
	v_mov_b64_e32 v[6:7], v[2:3]
	;; [unrolled: 1-line block ×8, first 2 shown]
	v_mov_b32_e32 v41, v1
	v_mov_b64_e32 v[42:43], v[2:3]
	v_mov_b32_e32 v45, v1
	v_mov_b64_e32 v[46:47], v[2:3]
	v_mov_b32_e32 v53, v1
	v_mov_b64_e32 v[54:55], v[2:3]
	v_mov_b32_e32 v49, v1
	v_mov_b64_e32 v[50:51], v[2:3]
	v_mov_b32_e32 v57, v1
	v_mov_b64_e32 v[58:59], v[2:3]
	v_mov_b32_e32 v13, v1
	v_mov_b64_e32 v[14:15], v[2:3]
	v_mov_b64_e32 v[62:63], 0
	v_mov_b64_e32 v[60:61], v[64:65]
.LBB87_2:                               ; =>This Inner Loop Header: Depth=1
	scratch_store_dwordx4 off, v[56:59], off offset:32
	ds_bpermute_b32 v56, v66, v56
	ds_bpermute_b32 v57, v66, v57
	;; [unrolled: 1-line block ×4, first 2 shown]
	scratch_store_dwordx4 off, v[48:51], off offset:48
	s_waitcnt vmcnt(4)
	scratch_store_dwordx4 off, v[52:55], off offset:64
	ds_bpermute_b32 v52, v67, v52
	ds_bpermute_b32 v53, v67, v53
	;; [unrolled: 1-line block ×4, first 2 shown]
	scratch_store_dwordx4 off, v[44:47], off offset:80
	scratch_store_dwordx4 off, v[40:43], off offset:96
	ds_bpermute_b32 v40, v68, v40
	ds_bpermute_b32 v41, v68, v41
	;; [unrolled: 1-line block ×4, first 2 shown]
	scratch_store_dwordx4 off, v[32:35], off offset:112
	s_waitcnt vmcnt(7)
	scratch_store_dwordx4 off, v[36:39], off offset:128
	ds_bpermute_b32 v36, v69, v36
	ds_bpermute_b32 v37, v69, v37
	;; [unrolled: 1-line block ×4, first 2 shown]
	scratch_store_dwordx4 off, v[28:31], off offset:160
	ds_bpermute_b32 v28, v70, v28
	ds_bpermute_b32 v29, v70, v29
	;; [unrolled: 1-line block ×4, first 2 shown]
	s_waitcnt vmcnt(8)
	scratch_store_dwordx4 off, v[24:27], off offset:192
	ds_bpermute_b32 v24, v71, v24
	ds_bpermute_b32 v25, v71, v25
	;; [unrolled: 1-line block ×4, first 2 shown]
	scratch_store_dwordx4 off, v[20:23], off offset:224
	ds_bpermute_b32 v20, v72, v20
	ds_bpermute_b32 v21, v72, v21
	;; [unrolled: 1-line block ×4, first 2 shown]
	scratch_store_dwordx4 off, v[60:63], off
	scratch_store_dwordx4 off, v[12:15], off offset:16
	scratch_store_dwordx4 off, v[16:19], off offset:144
	;; [unrolled: 1-line block ×5, first 2 shown]
	scratch_store_dwordx4 v73, v[60:63], off
	s_waitcnt lgkmcnt(14)
	scratch_store_dwordx4 v74, v[56:59], off
	scratch_store_dwordx4 v76, v[52:55], off
	;; [unrolled: 1-line block ×3, first 2 shown]
	s_waitcnt lgkmcnt(12)
	scratch_store_dwordx4 v80, v[36:39], off
	s_waitcnt lgkmcnt(8)
	scratch_store_dwordx4 v81, v[28:31], off
	;; [unrolled: 2-line block ×4, first 2 shown]
	ds_bpermute_b32 v48, v66, v48
	ds_bpermute_b32 v49, v66, v49
	;; [unrolled: 1-line block ×4, first 2 shown]
	scratch_load_dwordx4 v[28:31], off, off offset:64
	scratch_load_dwordx4 v[40:43], off, off offset:48
	ds_bpermute_b32 v44, v67, v44
	ds_bpermute_b32 v45, v67, v45
	;; [unrolled: 1-line block ×4, first 2 shown]
	scratch_load_dwordx4 v[36:39], off, off offset:80
	ds_bpermute_b32 v32, v68, v32
	ds_bpermute_b32 v33, v68, v33
	;; [unrolled: 1-line block ×16, first 2 shown]
	scratch_load_dwordx4 v[20:23], off, off offset:16
	scratch_load_dwordx4 v[24:27], off, off offset:32
	ds_bpermute_b32 v0, v72, v0
	ds_bpermute_b32 v1, v72, v1
	;; [unrolled: 1-line block ×4, first 2 shown]
	scratch_store_dwordx4 v73, v[12:15], off offset:128
	scratch_load_dwordx4 v[12:15], off, off offset:96
	s_waitcnt lgkmcnt(14)
	scratch_store_dwordx4 v75, v[48:51], off
	scratch_store_dwordx4 v77, v[44:47], off
	;; [unrolled: 1-line block ×3, first 2 shown]
	scratch_load_dwordx4 v[32:35], off, off offset:112
	s_waitcnt lgkmcnt(12)
	scratch_store_dwordx4 v80, v[16:19], off offset:128
	s_waitcnt lgkmcnt(8)
	scratch_store_dwordx4 v82, v[8:11], off
	s_waitcnt lgkmcnt(4)
	scratch_store_dwordx4 v84, v[4:7], off
	s_waitcnt lgkmcnt(0)
	scratch_store_dwordx4 v86, v[0:3], off
	scratch_load_dwordx4 v[0:3], off, off offset:144
	s_nop 0
	scratch_load_dwordx4 v[4:7], off, off offset:160
	scratch_load_dwordx4 v[8:11], off, off offset:176
	;; [unrolled: 1-line block ×6, first 2 shown]
	scratch_load_dwordx4 v[56:59], off, off
	s_add_i32 s3, s3, -1
	s_cmp_lg_u32 s3, 0
	s_waitcnt vmcnt(22)
	ds_bpermute_b32 v28, v69, v28
	ds_bpermute_b32 v29, v69, v29
	;; [unrolled: 1-line block ×4, first 2 shown]
	s_waitcnt vmcnt(21)
	ds_bpermute_b32 v40, v70, v40
	ds_bpermute_b32 v41, v70, v41
	s_waitcnt vmcnt(20)
	ds_bpermute_b32 v36, v68, v36
	ds_bpermute_b32 v37, v68, v37
	;; [unrolled: 1-line block ×4, first 2 shown]
	s_waitcnt lgkmcnt(6)
	scratch_store_dwordx4 off, v[28:31], off offset:64
	s_waitcnt lgkmcnt(0)
	scratch_store_dwordx4 off, v[36:39], off offset:80
	scratch_load_dwordx4 v[60:63], off, off offset:64
	ds_bpermute_b32 v42, v70, v42
	ds_bpermute_b32 v43, v70, v43
	s_waitcnt vmcnt(22)
	ds_bpermute_b32 v20, v72, v20
	ds_bpermute_b32 v21, v72, v21
	ds_bpermute_b32 v22, v72, v22
	ds_bpermute_b32 v23, v72, v23
	s_waitcnt vmcnt(10)
	ds_bpermute_b32 v36, v72, v0
	ds_bpermute_b32 v37, v72, v1
	;; [unrolled: 5-line block ×3, first 2 shown]
	ds_bpermute_b32 v29, v66, v33
	ds_bpermute_b32 v30, v66, v34
	;; [unrolled: 1-line block ×3, first 2 shown]
	scratch_load_dwordx4 v[32:35], off, off offset:128
	ds_bpermute_b32 v1, v71, v5
	ds_bpermute_b32 v2, v71, v6
	ds_bpermute_b32 v3, v71, v7
	s_waitcnt vmcnt(9)
	ds_bpermute_b32 v4, v70, v8
	ds_bpermute_b32 v5, v70, v9
	ds_bpermute_b32 v6, v70, v10
	ds_bpermute_b32 v7, v70, v11
	s_waitcnt vmcnt(8)
	ds_bpermute_b32 v8, v69, v16
	;; [unrolled: 5-line block ×5, first 2 shown]
	ds_bpermute_b32 v49, v66, v53
	ds_bpermute_b32 v50, v66, v54
	;; [unrolled: 1-line block ×3, first 2 shown]
	scratch_load_dwordx4 v[52:55], off, off offset:80
	ds_bpermute_b32 v12, v67, v12
	ds_bpermute_b32 v13, v67, v13
	;; [unrolled: 1-line block ×8, first 2 shown]
	s_waitcnt lgkmcnt(4)
	scratch_store_dwordx4 off, v[12:15], off offset:96
	scratch_store_dwordx4 off, v[28:31], off offset:112
	;; [unrolled: 1-line block ×4, first 2 shown]
	s_waitcnt lgkmcnt(0)
	scratch_store_dwordx4 off, v[24:27], off offset:32
	scratch_store_dwordx4 off, v[40:43], off offset:48
	s_waitcnt vmcnt(11)
	scratch_store_dwordx4 v87, v[56:59], off
	v_mov_b32_dpp v36, v36 quad_perm:[2,3,0,1] row_mask:0xf bank_mask:0xf
	v_mov_b32_dpp v37, v37 quad_perm:[2,3,0,1] row_mask:0xf bank_mask:0xf
	;; [unrolled: 1-line block ×16, first 2 shown]
	s_waitcnt vmcnt(9)
	v_mov_b32_dpp v60, v60 quad_perm:[3,0,1,2] row_mask:0xf bank_mask:0xf
	v_mov_b32_dpp v61, v61 quad_perm:[3,0,1,2] row_mask:0xf bank_mask:0xf
	;; [unrolled: 1-line block ×4, first 2 shown]
	scratch_store_dwordx4 v88, v[60:63], off
	s_waitcnt vmcnt(9)
	v_mov_b32_dpp v32, v32 quad_perm:[2,3,0,1] row_mask:0xf bank_mask:0xf
	v_mov_b32_dpp v33, v33 quad_perm:[2,3,0,1] row_mask:0xf bank_mask:0xf
	;; [unrolled: 1-line block ×6, first 2 shown]
	scratch_store_dwordx4 v89, v[32:35], off
	scratch_store_dwordx4 v90, v[58:61], off
	scratch_load_dwordx4 v[32:35], off, off offset:272
	v_mov_b32_dpp v62, v18 quad_perm:[1,2,3,0] row_mask:0xf bank_mask:0xf
	scratch_store_dwordx4 v87, v[20:23], off offset:64
	scratch_load_dwordx4 v[20:23], off, off offset:288
	v_mov_b32_dpp v60, v16 quad_perm:[1,2,3,0] row_mask:0xf bank_mask:0xf
	v_mov_b32_dpp v61, v17 quad_perm:[1,2,3,0] row_mask:0xf bank_mask:0xf
	v_mov_b32_dpp v63, v19 quad_perm:[1,2,3,0] row_mask:0xf bank_mask:0xf
	v_mov_b32_dpp v58, v2 quad_perm:[2,3,0,1] row_mask:0xf bank_mask:0xf
	v_mov_b32_dpp v59, v3 quad_perm:[2,3,0,1] row_mask:0xf bank_mask:0xf
	s_waitcnt vmcnt(13)
	v_mov_b32_dpp v52, v52 quad_perm:[3,0,1,2] row_mask:0xf bank_mask:0xf
	v_mov_b32_dpp v53, v53 quad_perm:[3,0,1,2] row_mask:0xf bank_mask:0xf
	;; [unrolled: 1-line block ×4, first 2 shown]
	scratch_store_dwordx4 v88, v[52:55], off offset:64
	scratch_load_dwordx4 v[52:55], off, off offset:304
	s_nop 0
	scratch_store_dwordx4 v89, v[36:39], off offset:64
	scratch_store_dwordx4 v91, v[60:63], off
	scratch_load_dwordx4 v[94:97], off, off offset:368
	s_nop 0
	scratch_load_dwordx4 v[36:39], off, off offset:336
	v_mov_b32_dpp v60, v4 quad_perm:[2,3,0,1] row_mask:0xf bank_mask:0xf
	scratch_store_dwordx4 v87, v[24:27], off offset:128
	scratch_load_dwordx4 v[24:27], off, off offset:352
	v_mov_b32_dpp v61, v5 quad_perm:[2,3,0,1] row_mask:0xf bank_mask:0xf
	scratch_store_dwordx4 v88, v[12:15], off offset:128
	scratch_store_dwordx4 v89, v[56:59], off offset:128
	v_mov_b32_dpp v62, v6 quad_perm:[2,3,0,1] row_mask:0xf bank_mask:0xf
	v_mov_b32_dpp v12, v44 quad_perm:[1,2,3,0] row_mask:0xf bank_mask:0xf
	;; [unrolled: 1-line block ×5, first 2 shown]
	scratch_store_dwordx4 v90, v[12:15], off offset:128
	v_mov_b32_dpp v63, v7 quad_perm:[2,3,0,1] row_mask:0xf bank_mask:0xf
	scratch_store_dwordx4 v87, v[40:43], off offset:192
	v_mov_b32_dpp v12, v48 quad_perm:[1,2,3,0] row_mask:0xf bank_mask:0xf
	v_mov_b32_dpp v13, v49 quad_perm:[1,2,3,0] row_mask:0xf bank_mask:0xf
	;; [unrolled: 1-line block ×4, first 2 shown]
	scratch_store_dwordx4 v88, v[28:31], off offset:192
	scratch_store_dwordx4 v89, v[60:63], off offset:192
	scratch_store_dwordx4 v92, v[12:15], off
	scratch_load_dwordx4 v[98:101], off, off offset:400
	scratch_load_dwordx4 v[102:105], off, off offset:416
	;; [unrolled: 1-line block ×4, first 2 shown]
	s_nop 0
	scratch_store_dwordx4 off, v[0:3], off offset:160
	scratch_store_dwordx4 off, v[4:7], off offset:176
	;; [unrolled: 1-line block ×6, first 2 shown]
	scratch_load_dwordx4 v[0:3], off, off offset:480
	scratch_load_dwordx4 v[60:63], off, off offset:256
	s_waitcnt vmcnt(29)
	v_mov_b32_dpp v12, v32 quad_perm:[1,2,3,0] row_mask:0xf bank_mask:0xf
	v_mov_b32_dpp v13, v33 quad_perm:[1,2,3,0] row_mask:0xf bank_mask:0xf
	;; [unrolled: 1-line block ×4, first 2 shown]
	s_waitcnt vmcnt(27)
	v_mov_b32_dpp v56, v20 quad_perm:[2,3,0,1] row_mask:0xf bank_mask:0xf
	v_mov_b32_dpp v57, v21 quad_perm:[2,3,0,1] row_mask:0xf bank_mask:0xf
	;; [unrolled: 1-line block ×4, first 2 shown]
	s_waitcnt vmcnt(25)
	v_mov_b32_dpp v48, v52 quad_perm:[3,0,1,2] row_mask:0xf bank_mask:0xf
	v_mov_b32_dpp v49, v53 quad_perm:[3,0,1,2] row_mask:0xf bank_mask:0xf
	s_waitcnt vmcnt(22)
	v_mov_b32_dpp v32, v94 quad_perm:[3,0,1,2] row_mask:0xf bank_mask:0xf
	v_mov_b32_dpp v33, v95 quad_perm:[3,0,1,2] row_mask:0xf bank_mask:0xf
	v_mov_b32_dpp v34, v96 quad_perm:[3,0,1,2] row_mask:0xf bank_mask:0xf
	v_mov_b32_dpp v35, v97 quad_perm:[3,0,1,2] row_mask:0xf bank_mask:0xf
	scratch_load_dwordx4 v[94:97], off, off offset:496
	v_mov_b32_dpp v50, v54 quad_perm:[3,0,1,2] row_mask:0xf bank_mask:0xf
	v_mov_b32_dpp v51, v55 quad_perm:[3,0,1,2] row_mask:0xf bank_mask:0xf
	scratch_load_dwordx4 v[52:55], off, off offset:320
	s_waitcnt vmcnt(23)
	v_mov_b32_dpp v44, v36 quad_perm:[1,2,3,0] row_mask:0xf bank_mask:0xf
	v_mov_b32_dpp v45, v37 quad_perm:[1,2,3,0] row_mask:0xf bank_mask:0xf
	;; [unrolled: 1-line block ×4, first 2 shown]
	s_waitcnt vmcnt(21)
	v_mov_b32_dpp v40, v24 quad_perm:[2,3,0,1] row_mask:0xf bank_mask:0xf
	v_mov_b32_dpp v41, v25 quad_perm:[2,3,0,1] row_mask:0xf bank_mask:0xf
	v_mov_b32_dpp v42, v26 quad_perm:[2,3,0,1] row_mask:0xf bank_mask:0xf
	v_mov_b32_dpp v43, v27 quad_perm:[2,3,0,1] row_mask:0xf bank_mask:0xf
	scratch_load_dwordx4 v[36:39], off, off offset:384
	scratch_load_dwordx4 v[24:27], off, off offset:448
	; wave barrier
	s_waitcnt vmcnt(15)
	v_mov_b32_dpp v16, v98 quad_perm:[1,2,3,0] row_mask:0xf bank_mask:0xf
	v_mov_b32_dpp v17, v99 quad_perm:[1,2,3,0] row_mask:0xf bank_mask:0xf
	v_mov_b32_dpp v18, v100 quad_perm:[1,2,3,0] row_mask:0xf bank_mask:0xf
	v_mov_b32_dpp v19, v101 quad_perm:[1,2,3,0] row_mask:0xf bank_mask:0xf
	s_waitcnt vmcnt(14)
	v_mov_b32_dpp v28, v102 quad_perm:[2,3,0,1] row_mask:0xf bank_mask:0xf
	v_mov_b32_dpp v29, v103 quad_perm:[2,3,0,1] row_mask:0xf bank_mask:0xf
	v_mov_b32_dpp v30, v104 quad_perm:[2,3,0,1] row_mask:0xf bank_mask:0xf
	v_mov_b32_dpp v31, v105 quad_perm:[2,3,0,1] row_mask:0xf bank_mask:0xf
	;; [unrolled: 5-line block ×6, first 2 shown]
	s_cbranch_scc1 .LBB87_2
	s_branch .LBB87_4
.LBB87_3:
	v_mov_b32_e32 v65, 0
	v_mov_b64_e32 v[62:63], 0
	v_mov_b64_e32 v[2:3], 0
	v_mov_b32_e32 v13, v65
	v_mov_b32_e32 v57, v65
	;; [unrolled: 1-line block ×13, first 2 shown]
	v_mov_b64_e32 v[60:61], v[64:65]
	v_mov_b64_e32 v[14:15], v[62:63]
	;; [unrolled: 1-line block ×13, first 2 shown]
	v_mov_b32_e32 v5, v65
	v_mov_b64_e32 v[6:7], v[62:63]
	v_mov_b32_e32 v21, v65
	v_mov_b64_e32 v[22:23], v[62:63]
.LBB87_4:
	s_load_dwordx2 s[0:1], s[0:1], 0x0
	v_lshl_or_b32 v64, s2, 12, v64
	v_mov_b32_e32 v65, 0
	s_waitcnt lgkmcnt(0)
	v_lshl_add_u64 v[64:65], v[64:65], 4, s[0:1]
	global_store_dwordx4 v[64:65], v[60:63], off
	global_store_dwordx4 v[64:65], v[12:15], off offset:16
	global_store_dwordx4 v[64:65], v[56:59], off offset:32
	global_store_dwordx4 v[64:65], v[48:51], off offset:48
	s_waitcnt vmcnt(6)
	global_store_dwordx4 v[64:65], v[52:55], off offset:64
	global_store_dwordx4 v[64:65], v[44:47], off offset:80
	global_store_dwordx4 v[64:65], v[40:43], off offset:96
	global_store_dwordx4 v[64:65], v[32:35], off offset:112
	s_waitcnt vmcnt(9)
	global_store_dwordx4 v[64:65], v[36:39], off offset:128
	;; [unrolled: 5-line block ×3, first 2 shown]
	global_store_dwordx4 v[64:65], v[4:7], off offset:208
	global_store_dwordx4 v[64:65], v[20:23], off offset:224
	;; [unrolled: 1-line block ×3, first 2 shown]
	s_endpgm
	.section	.rodata,"a",@progbits
	.p2align	6, 0x0
	.amdhsa_kernel _Z20warp_exchange_kernelILj256ELj16ELj32EN6common25StripedToBlockedShuffleOpEoEvPT3_j
		.amdhsa_group_segment_fixed_size 0
		.amdhsa_private_segment_fixed_size 528
		.amdhsa_kernarg_size 12
		.amdhsa_user_sgpr_count 2
		.amdhsa_user_sgpr_dispatch_ptr 0
		.amdhsa_user_sgpr_queue_ptr 0
		.amdhsa_user_sgpr_kernarg_segment_ptr 1
		.amdhsa_user_sgpr_dispatch_id 0
		.amdhsa_user_sgpr_kernarg_preload_length 0
		.amdhsa_user_sgpr_kernarg_preload_offset 0
		.amdhsa_user_sgpr_private_segment_size 0
		.amdhsa_uses_dynamic_stack 0
		.amdhsa_enable_private_segment 1
		.amdhsa_system_sgpr_workgroup_id_x 1
		.amdhsa_system_sgpr_workgroup_id_y 0
		.amdhsa_system_sgpr_workgroup_id_z 0
		.amdhsa_system_sgpr_workgroup_info 0
		.amdhsa_system_vgpr_workitem_id 0
		.amdhsa_next_free_vgpr 114
		.amdhsa_next_free_sgpr 4
		.amdhsa_accum_offset 116
		.amdhsa_reserve_vcc 0
		.amdhsa_float_round_mode_32 0
		.amdhsa_float_round_mode_16_64 0
		.amdhsa_float_denorm_mode_32 3
		.amdhsa_float_denorm_mode_16_64 3
		.amdhsa_dx10_clamp 1
		.amdhsa_ieee_mode 1
		.amdhsa_fp16_overflow 0
		.amdhsa_tg_split 0
		.amdhsa_exception_fp_ieee_invalid_op 0
		.amdhsa_exception_fp_denorm_src 0
		.amdhsa_exception_fp_ieee_div_zero 0
		.amdhsa_exception_fp_ieee_overflow 0
		.amdhsa_exception_fp_ieee_underflow 0
		.amdhsa_exception_fp_ieee_inexact 0
		.amdhsa_exception_int_div_zero 0
	.end_amdhsa_kernel
	.section	.text._Z20warp_exchange_kernelILj256ELj16ELj32EN6common25StripedToBlockedShuffleOpEoEvPT3_j,"axG",@progbits,_Z20warp_exchange_kernelILj256ELj16ELj32EN6common25StripedToBlockedShuffleOpEoEvPT3_j,comdat
.Lfunc_end87:
	.size	_Z20warp_exchange_kernelILj256ELj16ELj32EN6common25StripedToBlockedShuffleOpEoEvPT3_j, .Lfunc_end87-_Z20warp_exchange_kernelILj256ELj16ELj32EN6common25StripedToBlockedShuffleOpEoEvPT3_j
                                        ; -- End function
	.section	.AMDGPU.csdata,"",@progbits
; Kernel info:
; codeLenInByte = 3596
; NumSgprs: 10
; NumVgprs: 114
; NumAgprs: 0
; TotalNumVgprs: 114
; ScratchSize: 528
; MemoryBound: 0
; FloatMode: 240
; IeeeMode: 1
; LDSByteSize: 0 bytes/workgroup (compile time only)
; SGPRBlocks: 1
; VGPRBlocks: 14
; NumSGPRsForWavesPerEU: 10
; NumVGPRsForWavesPerEU: 114
; AccumOffset: 116
; Occupancy: 4
; WaveLimiterHint : 1
; COMPUTE_PGM_RSRC2:SCRATCH_EN: 1
; COMPUTE_PGM_RSRC2:USER_SGPR: 2
; COMPUTE_PGM_RSRC2:TRAP_HANDLER: 0
; COMPUTE_PGM_RSRC2:TGID_X_EN: 1
; COMPUTE_PGM_RSRC2:TGID_Y_EN: 0
; COMPUTE_PGM_RSRC2:TGID_Z_EN: 0
; COMPUTE_PGM_RSRC2:TIDIG_COMP_CNT: 0
; COMPUTE_PGM_RSRC3_GFX90A:ACCUM_OFFSET: 28
; COMPUTE_PGM_RSRC3_GFX90A:TG_SPLIT: 0
	.section	.text._Z20warp_exchange_kernelILj256ELj1ELj16E18ScatterToStripedOpoEvPT3_j,"axG",@progbits,_Z20warp_exchange_kernelILj256ELj1ELj16E18ScatterToStripedOpoEvPT3_j,comdat
	.protected	_Z20warp_exchange_kernelILj256ELj1ELj16E18ScatterToStripedOpoEvPT3_j ; -- Begin function _Z20warp_exchange_kernelILj256ELj1ELj16E18ScatterToStripedOpoEvPT3_j
	.globl	_Z20warp_exchange_kernelILj256ELj1ELj16E18ScatterToStripedOpoEvPT3_j
	.p2align	8
	.type	_Z20warp_exchange_kernelILj256ELj1ELj16E18ScatterToStripedOpoEvPT3_j,@function
_Z20warp_exchange_kernelILj256ELj1ELj16E18ScatterToStripedOpoEvPT3_j: ; @_Z20warp_exchange_kernelILj256ELj1ELj16E18ScatterToStripedOpoEvPT3_j
; %bb.0:
	s_load_dword s3, s[0:1], 0x8
	v_mov_b32_e32 v1, 0
	s_waitcnt lgkmcnt(0)
	s_cmp_eq_u32 s3, 0
	s_cbranch_scc1 .LBB88_3
; %bb.1:
	v_mbcnt_lo_u32_b32 v6, -1, 0
	v_not_b32_e32 v2, v0
	v_lshlrev_b32_e32 v3, 4, v0
	v_mbcnt_hi_u32_b32 v6, -1, v6
	v_and_b32_e32 v2, 15, v2
	v_and_b32_e32 v3, 0xf00, v3
	;; [unrolled: 1-line block ×3, first 2 shown]
	v_mov_b64_e32 v[4:5], 0
	v_lshl_or_b32 v6, v2, 4, v3
	v_lshl_or_b32 v7, v7, 4, v3
	v_mov_b64_e32 v[2:3], v[0:1]
.LBB88_2:                               ; =>This Inner Loop Header: Depth=1
	s_waitcnt lgkmcnt(0)
	ds_write_b128 v6, v[2:5]
	; wave barrier
	ds_read_b128 v[2:5], v7
	s_add_i32 s3, s3, -1
	s_cmp_lg_u32 s3, 0
	; wave barrier
	s_cbranch_scc1 .LBB88_2
	s_branch .LBB88_4
.LBB88_3:
	v_mov_b64_e32 v[4:5], 0
	v_mov_b64_e32 v[2:3], v[0:1]
.LBB88_4:
	s_load_dwordx2 s[0:1], s[0:1], 0x0
	v_lshl_or_b32 v0, s2, 8, v0
	v_mov_b32_e32 v1, 0
	s_waitcnt lgkmcnt(0)
	v_lshl_add_u64 v[0:1], v[0:1], 4, s[0:1]
	global_store_dwordx4 v[0:1], v[2:5], off
	s_endpgm
	.section	.rodata,"a",@progbits
	.p2align	6, 0x0
	.amdhsa_kernel _Z20warp_exchange_kernelILj256ELj1ELj16E18ScatterToStripedOpoEvPT3_j
		.amdhsa_group_segment_fixed_size 4096
		.amdhsa_private_segment_fixed_size 0
		.amdhsa_kernarg_size 12
		.amdhsa_user_sgpr_count 2
		.amdhsa_user_sgpr_dispatch_ptr 0
		.amdhsa_user_sgpr_queue_ptr 0
		.amdhsa_user_sgpr_kernarg_segment_ptr 1
		.amdhsa_user_sgpr_dispatch_id 0
		.amdhsa_user_sgpr_kernarg_preload_length 0
		.amdhsa_user_sgpr_kernarg_preload_offset 0
		.amdhsa_user_sgpr_private_segment_size 0
		.amdhsa_uses_dynamic_stack 0
		.amdhsa_enable_private_segment 0
		.amdhsa_system_sgpr_workgroup_id_x 1
		.amdhsa_system_sgpr_workgroup_id_y 0
		.amdhsa_system_sgpr_workgroup_id_z 0
		.amdhsa_system_sgpr_workgroup_info 0
		.amdhsa_system_vgpr_workitem_id 0
		.amdhsa_next_free_vgpr 8
		.amdhsa_next_free_sgpr 4
		.amdhsa_accum_offset 8
		.amdhsa_reserve_vcc 0
		.amdhsa_float_round_mode_32 0
		.amdhsa_float_round_mode_16_64 0
		.amdhsa_float_denorm_mode_32 3
		.amdhsa_float_denorm_mode_16_64 3
		.amdhsa_dx10_clamp 1
		.amdhsa_ieee_mode 1
		.amdhsa_fp16_overflow 0
		.amdhsa_tg_split 0
		.amdhsa_exception_fp_ieee_invalid_op 0
		.amdhsa_exception_fp_denorm_src 0
		.amdhsa_exception_fp_ieee_div_zero 0
		.amdhsa_exception_fp_ieee_overflow 0
		.amdhsa_exception_fp_ieee_underflow 0
		.amdhsa_exception_fp_ieee_inexact 0
		.amdhsa_exception_int_div_zero 0
	.end_amdhsa_kernel
	.section	.text._Z20warp_exchange_kernelILj256ELj1ELj16E18ScatterToStripedOpoEvPT3_j,"axG",@progbits,_Z20warp_exchange_kernelILj256ELj1ELj16E18ScatterToStripedOpoEvPT3_j,comdat
.Lfunc_end88:
	.size	_Z20warp_exchange_kernelILj256ELj1ELj16E18ScatterToStripedOpoEvPT3_j, .Lfunc_end88-_Z20warp_exchange_kernelILj256ELj1ELj16E18ScatterToStripedOpoEvPT3_j
                                        ; -- End function
	.section	.AMDGPU.csdata,"",@progbits
; Kernel info:
; codeLenInByte = 176
; NumSgprs: 10
; NumVgprs: 8
; NumAgprs: 0
; TotalNumVgprs: 8
; ScratchSize: 0
; MemoryBound: 0
; FloatMode: 240
; IeeeMode: 1
; LDSByteSize: 4096 bytes/workgroup (compile time only)
; SGPRBlocks: 1
; VGPRBlocks: 0
; NumSGPRsForWavesPerEU: 10
; NumVGPRsForWavesPerEU: 8
; AccumOffset: 8
; Occupancy: 8
; WaveLimiterHint : 0
; COMPUTE_PGM_RSRC2:SCRATCH_EN: 0
; COMPUTE_PGM_RSRC2:USER_SGPR: 2
; COMPUTE_PGM_RSRC2:TRAP_HANDLER: 0
; COMPUTE_PGM_RSRC2:TGID_X_EN: 1
; COMPUTE_PGM_RSRC2:TGID_Y_EN: 0
; COMPUTE_PGM_RSRC2:TGID_Z_EN: 0
; COMPUTE_PGM_RSRC2:TIDIG_COMP_CNT: 0
; COMPUTE_PGM_RSRC3_GFX90A:ACCUM_OFFSET: 1
; COMPUTE_PGM_RSRC3_GFX90A:TG_SPLIT: 0
	.section	.text._Z20warp_exchange_kernelILj256ELj1ELj32E18ScatterToStripedOpoEvPT3_j,"axG",@progbits,_Z20warp_exchange_kernelILj256ELj1ELj32E18ScatterToStripedOpoEvPT3_j,comdat
	.protected	_Z20warp_exchange_kernelILj256ELj1ELj32E18ScatterToStripedOpoEvPT3_j ; -- Begin function _Z20warp_exchange_kernelILj256ELj1ELj32E18ScatterToStripedOpoEvPT3_j
	.globl	_Z20warp_exchange_kernelILj256ELj1ELj32E18ScatterToStripedOpoEvPT3_j
	.p2align	8
	.type	_Z20warp_exchange_kernelILj256ELj1ELj32E18ScatterToStripedOpoEvPT3_j,@function
_Z20warp_exchange_kernelILj256ELj1ELj32E18ScatterToStripedOpoEvPT3_j: ; @_Z20warp_exchange_kernelILj256ELj1ELj32E18ScatterToStripedOpoEvPT3_j
; %bb.0:
	s_load_dword s3, s[0:1], 0x8
	v_mov_b32_e32 v1, 0
	s_waitcnt lgkmcnt(0)
	s_cmp_eq_u32 s3, 0
	s_cbranch_scc1 .LBB89_3
; %bb.1:
	v_mbcnt_lo_u32_b32 v6, -1, 0
	v_not_b32_e32 v2, v0
	v_lshlrev_b32_e32 v3, 4, v0
	v_mbcnt_hi_u32_b32 v6, -1, v6
	v_and_b32_e32 v2, 31, v2
	v_and_b32_e32 v3, 0xe00, v3
	v_and_b32_e32 v7, 31, v6
	v_mov_b64_e32 v[4:5], 0
	v_lshl_or_b32 v6, v2, 4, v3
	v_lshl_or_b32 v7, v7, 4, v3
	v_mov_b64_e32 v[2:3], v[0:1]
.LBB89_2:                               ; =>This Inner Loop Header: Depth=1
	s_waitcnt lgkmcnt(0)
	ds_write_b128 v6, v[2:5]
	; wave barrier
	ds_read_b128 v[2:5], v7
	s_add_i32 s3, s3, -1
	s_cmp_lg_u32 s3, 0
	; wave barrier
	s_cbranch_scc1 .LBB89_2
	s_branch .LBB89_4
.LBB89_3:
	v_mov_b64_e32 v[4:5], 0
	v_mov_b64_e32 v[2:3], v[0:1]
.LBB89_4:
	s_load_dwordx2 s[0:1], s[0:1], 0x0
	v_lshl_or_b32 v0, s2, 8, v0
	v_mov_b32_e32 v1, 0
	s_waitcnt lgkmcnt(0)
	v_lshl_add_u64 v[0:1], v[0:1], 4, s[0:1]
	global_store_dwordx4 v[0:1], v[2:5], off
	s_endpgm
	.section	.rodata,"a",@progbits
	.p2align	6, 0x0
	.amdhsa_kernel _Z20warp_exchange_kernelILj256ELj1ELj32E18ScatterToStripedOpoEvPT3_j
		.amdhsa_group_segment_fixed_size 4096
		.amdhsa_private_segment_fixed_size 0
		.amdhsa_kernarg_size 12
		.amdhsa_user_sgpr_count 2
		.amdhsa_user_sgpr_dispatch_ptr 0
		.amdhsa_user_sgpr_queue_ptr 0
		.amdhsa_user_sgpr_kernarg_segment_ptr 1
		.amdhsa_user_sgpr_dispatch_id 0
		.amdhsa_user_sgpr_kernarg_preload_length 0
		.amdhsa_user_sgpr_kernarg_preload_offset 0
		.amdhsa_user_sgpr_private_segment_size 0
		.amdhsa_uses_dynamic_stack 0
		.amdhsa_enable_private_segment 0
		.amdhsa_system_sgpr_workgroup_id_x 1
		.amdhsa_system_sgpr_workgroup_id_y 0
		.amdhsa_system_sgpr_workgroup_id_z 0
		.amdhsa_system_sgpr_workgroup_info 0
		.amdhsa_system_vgpr_workitem_id 0
		.amdhsa_next_free_vgpr 8
		.amdhsa_next_free_sgpr 4
		.amdhsa_accum_offset 8
		.amdhsa_reserve_vcc 0
		.amdhsa_float_round_mode_32 0
		.amdhsa_float_round_mode_16_64 0
		.amdhsa_float_denorm_mode_32 3
		.amdhsa_float_denorm_mode_16_64 3
		.amdhsa_dx10_clamp 1
		.amdhsa_ieee_mode 1
		.amdhsa_fp16_overflow 0
		.amdhsa_tg_split 0
		.amdhsa_exception_fp_ieee_invalid_op 0
		.amdhsa_exception_fp_denorm_src 0
		.amdhsa_exception_fp_ieee_div_zero 0
		.amdhsa_exception_fp_ieee_overflow 0
		.amdhsa_exception_fp_ieee_underflow 0
		.amdhsa_exception_fp_ieee_inexact 0
		.amdhsa_exception_int_div_zero 0
	.end_amdhsa_kernel
	.section	.text._Z20warp_exchange_kernelILj256ELj1ELj32E18ScatterToStripedOpoEvPT3_j,"axG",@progbits,_Z20warp_exchange_kernelILj256ELj1ELj32E18ScatterToStripedOpoEvPT3_j,comdat
.Lfunc_end89:
	.size	_Z20warp_exchange_kernelILj256ELj1ELj32E18ScatterToStripedOpoEvPT3_j, .Lfunc_end89-_Z20warp_exchange_kernelILj256ELj1ELj32E18ScatterToStripedOpoEvPT3_j
                                        ; -- End function
	.section	.AMDGPU.csdata,"",@progbits
; Kernel info:
; codeLenInByte = 176
; NumSgprs: 10
; NumVgprs: 8
; NumAgprs: 0
; TotalNumVgprs: 8
; ScratchSize: 0
; MemoryBound: 0
; FloatMode: 240
; IeeeMode: 1
; LDSByteSize: 4096 bytes/workgroup (compile time only)
; SGPRBlocks: 1
; VGPRBlocks: 0
; NumSGPRsForWavesPerEU: 10
; NumVGPRsForWavesPerEU: 8
; AccumOffset: 8
; Occupancy: 8
; WaveLimiterHint : 0
; COMPUTE_PGM_RSRC2:SCRATCH_EN: 0
; COMPUTE_PGM_RSRC2:USER_SGPR: 2
; COMPUTE_PGM_RSRC2:TRAP_HANDLER: 0
; COMPUTE_PGM_RSRC2:TGID_X_EN: 1
; COMPUTE_PGM_RSRC2:TGID_Y_EN: 0
; COMPUTE_PGM_RSRC2:TGID_Z_EN: 0
; COMPUTE_PGM_RSRC2:TIDIG_COMP_CNT: 0
; COMPUTE_PGM_RSRC3_GFX90A:ACCUM_OFFSET: 1
; COMPUTE_PGM_RSRC3_GFX90A:TG_SPLIT: 0
	.section	.text._Z20warp_exchange_kernelILj256ELj4ELj16E18ScatterToStripedOpoEvPT3_j,"axG",@progbits,_Z20warp_exchange_kernelILj256ELj4ELj16E18ScatterToStripedOpoEvPT3_j,comdat
	.protected	_Z20warp_exchange_kernelILj256ELj4ELj16E18ScatterToStripedOpoEvPT3_j ; -- Begin function _Z20warp_exchange_kernelILj256ELj4ELj16E18ScatterToStripedOpoEvPT3_j
	.globl	_Z20warp_exchange_kernelILj256ELj4ELj16E18ScatterToStripedOpoEvPT3_j
	.p2align	8
	.type	_Z20warp_exchange_kernelILj256ELj4ELj16E18ScatterToStripedOpoEvPT3_j,@function
_Z20warp_exchange_kernelILj256ELj4ELj16E18ScatterToStripedOpoEvPT3_j: ; @_Z20warp_exchange_kernelILj256ELj4ELj16E18ScatterToStripedOpoEvPT3_j
; %bb.0:
	s_load_dword s3, s[0:1], 0x8
	v_lshlrev_b32_e32 v18, 2, v0
	v_or_b32_e32 v10, 1, v18
	v_or_b32_e32 v6, 2, v18
	;; [unrolled: 1-line block ×3, first 2 shown]
	s_waitcnt lgkmcnt(0)
	s_cmp_eq_u32 s3, 0
	s_cbranch_scc1 .LBB90_3
; %bb.1:
	v_lshlrev_b32_e32 v0, 6, v0
	v_and_b32_e32 v1, 60, v18
	v_and_b32_e32 v9, 0x3c00, v0
	v_mbcnt_lo_u32_b32 v0, -1, 0
	v_mov_b32_e32 v3, 0
	v_xor_b32_e32 v8, 60, v1
	v_mbcnt_hi_u32_b32 v12, -1, v0
	v_mov_b64_e32 v[4:5], 0
	v_mov_b32_e32 v19, v3
	v_lshl_or_b32 v0, v8, 4, v9
	v_and_b32_e32 v8, 15, v12
	v_mov_b64_e32 v[16:17], 0
	v_mov_b32_e32 v7, v3
	v_mov_b32_e32 v11, v3
	v_lshl_or_b32 v1, v1, 4, v9
	v_lshl_or_b32 v20, v8, 4, v9
	v_mov_b64_e32 v[8:9], v[4:5]
	v_mov_b64_e32 v[12:13], v[4:5]
	;; [unrolled: 1-line block ×3, first 2 shown]
.LBB90_2:                               ; =>This Inner Loop Header: Depth=1
	s_waitcnt lgkmcnt(3)
	ds_write_b128 v0, v[14:17]
	s_waitcnt lgkmcnt(3)
	ds_write_b128 v1, v[10:13] offset:16
	s_waitcnt lgkmcnt(3)
	ds_write_b128 v0, v[6:9] offset:32
	s_waitcnt lgkmcnt(3)
	ds_write_b128 v1, v[2:5] offset:48
	; wave barrier
	ds_read_b128 v[14:17], v20
	ds_read_b128 v[10:13], v20 offset:256
	ds_read_b128 v[6:9], v20 offset:512
	;; [unrolled: 1-line block ×3, first 2 shown]
	s_add_i32 s3, s3, -1
	s_cmp_lg_u32 s3, 0
	; wave barrier
	s_cbranch_scc1 .LBB90_2
	s_branch .LBB90_4
.LBB90_3:
	v_mov_b32_e32 v19, 0
	v_mov_b64_e32 v[16:17], 0
	v_mov_b64_e32 v[4:5], 0
	v_mov_b32_e32 v11, v19
	v_mov_b32_e32 v7, v19
	;; [unrolled: 1-line block ×3, first 2 shown]
	v_mov_b64_e32 v[14:15], v[18:19]
	v_mov_b64_e32 v[12:13], v[16:17]
	;; [unrolled: 1-line block ×3, first 2 shown]
.LBB90_4:
	s_load_dwordx2 s[0:1], s[0:1], 0x0
	v_lshl_or_b32 v0, s2, 10, v18
	v_mov_b32_e32 v1, 0
	s_waitcnt lgkmcnt(0)
	v_lshl_add_u64 v[0:1], v[0:1], 4, s[0:1]
	global_store_dwordx4 v[0:1], v[14:17], off
	global_store_dwordx4 v[0:1], v[10:13], off offset:16
	global_store_dwordx4 v[0:1], v[6:9], off offset:32
	;; [unrolled: 1-line block ×3, first 2 shown]
	s_endpgm
	.section	.rodata,"a",@progbits
	.p2align	6, 0x0
	.amdhsa_kernel _Z20warp_exchange_kernelILj256ELj4ELj16E18ScatterToStripedOpoEvPT3_j
		.amdhsa_group_segment_fixed_size 16384
		.amdhsa_private_segment_fixed_size 0
		.amdhsa_kernarg_size 12
		.amdhsa_user_sgpr_count 2
		.amdhsa_user_sgpr_dispatch_ptr 0
		.amdhsa_user_sgpr_queue_ptr 0
		.amdhsa_user_sgpr_kernarg_segment_ptr 1
		.amdhsa_user_sgpr_dispatch_id 0
		.amdhsa_user_sgpr_kernarg_preload_length 0
		.amdhsa_user_sgpr_kernarg_preload_offset 0
		.amdhsa_user_sgpr_private_segment_size 0
		.amdhsa_uses_dynamic_stack 0
		.amdhsa_enable_private_segment 0
		.amdhsa_system_sgpr_workgroup_id_x 1
		.amdhsa_system_sgpr_workgroup_id_y 0
		.amdhsa_system_sgpr_workgroup_id_z 0
		.amdhsa_system_sgpr_workgroup_info 0
		.amdhsa_system_vgpr_workitem_id 0
		.amdhsa_next_free_vgpr 21
		.amdhsa_next_free_sgpr 4
		.amdhsa_accum_offset 24
		.amdhsa_reserve_vcc 0
		.amdhsa_float_round_mode_32 0
		.amdhsa_float_round_mode_16_64 0
		.amdhsa_float_denorm_mode_32 3
		.amdhsa_float_denorm_mode_16_64 3
		.amdhsa_dx10_clamp 1
		.amdhsa_ieee_mode 1
		.amdhsa_fp16_overflow 0
		.amdhsa_tg_split 0
		.amdhsa_exception_fp_ieee_invalid_op 0
		.amdhsa_exception_fp_denorm_src 0
		.amdhsa_exception_fp_ieee_div_zero 0
		.amdhsa_exception_fp_ieee_overflow 0
		.amdhsa_exception_fp_ieee_underflow 0
		.amdhsa_exception_fp_ieee_inexact 0
		.amdhsa_exception_int_div_zero 0
	.end_amdhsa_kernel
	.section	.text._Z20warp_exchange_kernelILj256ELj4ELj16E18ScatterToStripedOpoEvPT3_j,"axG",@progbits,_Z20warp_exchange_kernelILj256ELj4ELj16E18ScatterToStripedOpoEvPT3_j,comdat
.Lfunc_end90:
	.size	_Z20warp_exchange_kernelILj256ELj4ELj16E18ScatterToStripedOpoEvPT3_j, .Lfunc_end90-_Z20warp_exchange_kernelILj256ELj4ELj16E18ScatterToStripedOpoEvPT3_j
                                        ; -- End function
	.section	.AMDGPU.csdata,"",@progbits
; Kernel info:
; codeLenInByte = 336
; NumSgprs: 10
; NumVgprs: 21
; NumAgprs: 0
; TotalNumVgprs: 21
; ScratchSize: 0
; MemoryBound: 0
; FloatMode: 240
; IeeeMode: 1
; LDSByteSize: 16384 bytes/workgroup (compile time only)
; SGPRBlocks: 1
; VGPRBlocks: 2
; NumSGPRsForWavesPerEU: 10
; NumVGPRsForWavesPerEU: 21
; AccumOffset: 24
; Occupancy: 4
; WaveLimiterHint : 0
; COMPUTE_PGM_RSRC2:SCRATCH_EN: 0
; COMPUTE_PGM_RSRC2:USER_SGPR: 2
; COMPUTE_PGM_RSRC2:TRAP_HANDLER: 0
; COMPUTE_PGM_RSRC2:TGID_X_EN: 1
; COMPUTE_PGM_RSRC2:TGID_Y_EN: 0
; COMPUTE_PGM_RSRC2:TGID_Z_EN: 0
; COMPUTE_PGM_RSRC2:TIDIG_COMP_CNT: 0
; COMPUTE_PGM_RSRC3_GFX90A:ACCUM_OFFSET: 5
; COMPUTE_PGM_RSRC3_GFX90A:TG_SPLIT: 0
	.section	.text._Z20warp_exchange_kernelILj256ELj4ELj32E18ScatterToStripedOpoEvPT3_j,"axG",@progbits,_Z20warp_exchange_kernelILj256ELj4ELj32E18ScatterToStripedOpoEvPT3_j,comdat
	.protected	_Z20warp_exchange_kernelILj256ELj4ELj32E18ScatterToStripedOpoEvPT3_j ; -- Begin function _Z20warp_exchange_kernelILj256ELj4ELj32E18ScatterToStripedOpoEvPT3_j
	.globl	_Z20warp_exchange_kernelILj256ELj4ELj32E18ScatterToStripedOpoEvPT3_j
	.p2align	8
	.type	_Z20warp_exchange_kernelILj256ELj4ELj32E18ScatterToStripedOpoEvPT3_j,@function
_Z20warp_exchange_kernelILj256ELj4ELj32E18ScatterToStripedOpoEvPT3_j: ; @_Z20warp_exchange_kernelILj256ELj4ELj32E18ScatterToStripedOpoEvPT3_j
; %bb.0:
	s_load_dword s3, s[0:1], 0x8
	v_lshlrev_b32_e32 v18, 2, v0
	v_or_b32_e32 v10, 1, v18
	v_or_b32_e32 v6, 2, v18
	;; [unrolled: 1-line block ×3, first 2 shown]
	s_waitcnt lgkmcnt(0)
	s_cmp_eq_u32 s3, 0
	s_cbranch_scc1 .LBB91_3
; %bb.1:
	v_lshlrev_b32_e32 v0, 6, v0
	v_and_b32_e32 v1, 0x7c, v18
	v_and_b32_e32 v9, 0x3800, v0
	v_mbcnt_lo_u32_b32 v0, -1, 0
	v_mov_b32_e32 v3, 0
	v_xor_b32_e32 v8, 0x7c, v1
	v_mbcnt_hi_u32_b32 v12, -1, v0
	v_mov_b64_e32 v[4:5], 0
	v_mov_b32_e32 v19, v3
	v_lshl_or_b32 v0, v8, 4, v9
	v_and_b32_e32 v8, 31, v12
	v_mov_b64_e32 v[16:17], 0
	v_mov_b32_e32 v7, v3
	v_mov_b32_e32 v11, v3
	v_lshl_or_b32 v1, v1, 4, v9
	v_lshl_or_b32 v20, v8, 4, v9
	v_mov_b64_e32 v[8:9], v[4:5]
	v_mov_b64_e32 v[12:13], v[4:5]
	;; [unrolled: 1-line block ×3, first 2 shown]
.LBB91_2:                               ; =>This Inner Loop Header: Depth=1
	s_waitcnt lgkmcnt(3)
	ds_write_b128 v0, v[14:17]
	s_waitcnt lgkmcnt(3)
	ds_write_b128 v1, v[10:13] offset:16
	s_waitcnt lgkmcnt(3)
	ds_write_b128 v0, v[6:9] offset:32
	;; [unrolled: 2-line block ×3, first 2 shown]
	; wave barrier
	ds_read_b128 v[14:17], v20
	ds_read_b128 v[10:13], v20 offset:512
	ds_read_b128 v[6:9], v20 offset:1024
	;; [unrolled: 1-line block ×3, first 2 shown]
	s_add_i32 s3, s3, -1
	s_cmp_lg_u32 s3, 0
	; wave barrier
	s_cbranch_scc1 .LBB91_2
	s_branch .LBB91_4
.LBB91_3:
	v_mov_b32_e32 v19, 0
	v_mov_b64_e32 v[16:17], 0
	v_mov_b64_e32 v[4:5], 0
	v_mov_b32_e32 v11, v19
	v_mov_b32_e32 v7, v19
	;; [unrolled: 1-line block ×3, first 2 shown]
	v_mov_b64_e32 v[14:15], v[18:19]
	v_mov_b64_e32 v[12:13], v[16:17]
	;; [unrolled: 1-line block ×3, first 2 shown]
.LBB91_4:
	s_load_dwordx2 s[0:1], s[0:1], 0x0
	v_lshl_or_b32 v0, s2, 10, v18
	v_mov_b32_e32 v1, 0
	s_waitcnt lgkmcnt(0)
	v_lshl_add_u64 v[0:1], v[0:1], 4, s[0:1]
	global_store_dwordx4 v[0:1], v[14:17], off
	global_store_dwordx4 v[0:1], v[10:13], off offset:16
	global_store_dwordx4 v[0:1], v[6:9], off offset:32
	;; [unrolled: 1-line block ×3, first 2 shown]
	s_endpgm
	.section	.rodata,"a",@progbits
	.p2align	6, 0x0
	.amdhsa_kernel _Z20warp_exchange_kernelILj256ELj4ELj32E18ScatterToStripedOpoEvPT3_j
		.amdhsa_group_segment_fixed_size 16384
		.amdhsa_private_segment_fixed_size 0
		.amdhsa_kernarg_size 12
		.amdhsa_user_sgpr_count 2
		.amdhsa_user_sgpr_dispatch_ptr 0
		.amdhsa_user_sgpr_queue_ptr 0
		.amdhsa_user_sgpr_kernarg_segment_ptr 1
		.amdhsa_user_sgpr_dispatch_id 0
		.amdhsa_user_sgpr_kernarg_preload_length 0
		.amdhsa_user_sgpr_kernarg_preload_offset 0
		.amdhsa_user_sgpr_private_segment_size 0
		.amdhsa_uses_dynamic_stack 0
		.amdhsa_enable_private_segment 0
		.amdhsa_system_sgpr_workgroup_id_x 1
		.amdhsa_system_sgpr_workgroup_id_y 0
		.amdhsa_system_sgpr_workgroup_id_z 0
		.amdhsa_system_sgpr_workgroup_info 0
		.amdhsa_system_vgpr_workitem_id 0
		.amdhsa_next_free_vgpr 21
		.amdhsa_next_free_sgpr 4
		.amdhsa_accum_offset 24
		.amdhsa_reserve_vcc 0
		.amdhsa_float_round_mode_32 0
		.amdhsa_float_round_mode_16_64 0
		.amdhsa_float_denorm_mode_32 3
		.amdhsa_float_denorm_mode_16_64 3
		.amdhsa_dx10_clamp 1
		.amdhsa_ieee_mode 1
		.amdhsa_fp16_overflow 0
		.amdhsa_tg_split 0
		.amdhsa_exception_fp_ieee_invalid_op 0
		.amdhsa_exception_fp_denorm_src 0
		.amdhsa_exception_fp_ieee_div_zero 0
		.amdhsa_exception_fp_ieee_overflow 0
		.amdhsa_exception_fp_ieee_underflow 0
		.amdhsa_exception_fp_ieee_inexact 0
		.amdhsa_exception_int_div_zero 0
	.end_amdhsa_kernel
	.section	.text._Z20warp_exchange_kernelILj256ELj4ELj32E18ScatterToStripedOpoEvPT3_j,"axG",@progbits,_Z20warp_exchange_kernelILj256ELj4ELj32E18ScatterToStripedOpoEvPT3_j,comdat
.Lfunc_end91:
	.size	_Z20warp_exchange_kernelILj256ELj4ELj32E18ScatterToStripedOpoEvPT3_j, .Lfunc_end91-_Z20warp_exchange_kernelILj256ELj4ELj32E18ScatterToStripedOpoEvPT3_j
                                        ; -- End function
	.section	.AMDGPU.csdata,"",@progbits
; Kernel info:
; codeLenInByte = 344
; NumSgprs: 10
; NumVgprs: 21
; NumAgprs: 0
; TotalNumVgprs: 21
; ScratchSize: 0
; MemoryBound: 0
; FloatMode: 240
; IeeeMode: 1
; LDSByteSize: 16384 bytes/workgroup (compile time only)
; SGPRBlocks: 1
; VGPRBlocks: 2
; NumSGPRsForWavesPerEU: 10
; NumVGPRsForWavesPerEU: 21
; AccumOffset: 24
; Occupancy: 4
; WaveLimiterHint : 0
; COMPUTE_PGM_RSRC2:SCRATCH_EN: 0
; COMPUTE_PGM_RSRC2:USER_SGPR: 2
; COMPUTE_PGM_RSRC2:TRAP_HANDLER: 0
; COMPUTE_PGM_RSRC2:TGID_X_EN: 1
; COMPUTE_PGM_RSRC2:TGID_Y_EN: 0
; COMPUTE_PGM_RSRC2:TGID_Z_EN: 0
; COMPUTE_PGM_RSRC2:TIDIG_COMP_CNT: 0
; COMPUTE_PGM_RSRC3_GFX90A:ACCUM_OFFSET: 5
; COMPUTE_PGM_RSRC3_GFX90A:TG_SPLIT: 0
	.section	.text._Z20warp_exchange_kernelILj256ELj16ELj16E18ScatterToStripedOpoEvPT3_j,"axG",@progbits,_Z20warp_exchange_kernelILj256ELj16ELj16E18ScatterToStripedOpoEvPT3_j,comdat
	.protected	_Z20warp_exchange_kernelILj256ELj16ELj16E18ScatterToStripedOpoEvPT3_j ; -- Begin function _Z20warp_exchange_kernelILj256ELj16ELj16E18ScatterToStripedOpoEvPT3_j
	.globl	_Z20warp_exchange_kernelILj256ELj16ELj16E18ScatterToStripedOpoEvPT3_j
	.p2align	8
	.type	_Z20warp_exchange_kernelILj256ELj16ELj16E18ScatterToStripedOpoEvPT3_j,@function
_Z20warp_exchange_kernelILj256ELj16ELj16E18ScatterToStripedOpoEvPT3_j: ; @_Z20warp_exchange_kernelILj256ELj16ELj16E18ScatterToStripedOpoEvPT3_j
; %bb.0:
	s_load_dword s3, s[0:1], 0x8
	v_lshlrev_b32_e32 v66, 4, v0
	v_or_b32_e32 v58, 1, v66
	v_or_b32_e32 v54, 2, v66
	v_or_b32_e32 v50, 3, v66
	v_or_b32_e32 v46, 4, v66
	v_or_b32_e32 v42, 5, v66
	v_or_b32_e32 v38, 6, v66
	v_or_b32_e32 v34, 7, v66
	v_or_b32_e32 v30, 8, v66
	v_or_b32_e32 v26, 9, v66
	v_or_b32_e32 v22, 10, v66
	v_or_b32_e32 v18, 11, v66
	v_or_b32_e32 v14, 12, v66
	v_or_b32_e32 v10, 13, v66
	v_or_b32_e32 v6, 14, v66
	s_waitcnt lgkmcnt(0)
	s_cmp_eq_u32 s3, 0
	v_or_b32_e32 v2, 15, v66
	s_cbranch_scc1 .LBB92_3
; %bb.1:
	v_lshlrev_b32_e32 v0, 8, v0
	v_and_b32_e32 v5, 0xf000, v0
	v_mbcnt_lo_u32_b32 v0, -1, 0
	v_mov_b32_e32 v3, 0
	v_and_b32_e32 v4, 0xf0, v66
	v_mbcnt_hi_u32_b32 v0, -1, v0
	v_mov_b64_e32 v[60:61], 0
	v_mov_b32_e32 v67, v3
	v_xor_b32_e32 v1, 0xf0, v4
	v_and_b32_e32 v0, 15, v0
	v_mov_b64_e32 v[64:65], 0
	v_mov_b32_e32 v7, v3
	v_mov_b32_e32 v11, v3
	;; [unrolled: 1-line block ×14, first 2 shown]
	v_lshl_or_b32 v0, v0, 4, v5
	v_lshl_or_b32 v1, v1, 4, v5
	;; [unrolled: 1-line block ×3, first 2 shown]
	v_mov_b64_e32 v[62:63], v[66:67]
	v_mov_b64_e32 v[56:57], v[60:61]
	;; [unrolled: 1-line block ×15, first 2 shown]
.LBB92_2:                               ; =>This Inner Loop Header: Depth=1
	s_waitcnt lgkmcnt(14)
	ds_write_b128 v1, v[62:65]
	ds_write_b128 v68, v[58:61] offset:16
	s_waitcnt lgkmcnt(14)
	ds_write_b128 v1, v[54:57] offset:32
	ds_write_b128 v68, v[50:53] offset:48
	s_waitcnt lgkmcnt(14)
	ds_write_b128 v1, v[46:49] offset:64
	ds_write_b128 v68, v[42:45] offset:80
	s_waitcnt lgkmcnt(14)
	ds_write_b128 v1, v[38:41] offset:96
	ds_write_b128 v68, v[34:37] offset:112
	s_waitcnt lgkmcnt(14)
	ds_write_b128 v1, v[30:33] offset:128
	ds_write_b128 v68, v[26:29] offset:144
	s_waitcnt lgkmcnt(14)
	ds_write_b128 v1, v[22:25] offset:160
	ds_write_b128 v68, v[18:21] offset:176
	s_waitcnt lgkmcnt(14)
	ds_write_b128 v1, v[14:17] offset:192
	ds_write_b128 v68, v[10:13] offset:208
	s_waitcnt lgkmcnt(14)
	ds_write_b128 v1, v[6:9] offset:224
	ds_write_b128 v68, v[2:5] offset:240
	; wave barrier
	ds_read_b128 v[62:65], v0
	ds_read_b128 v[58:61], v0 offset:256
	ds_read_b128 v[54:57], v0 offset:512
	;; [unrolled: 1-line block ×15, first 2 shown]
	s_add_i32 s3, s3, -1
	s_cmp_lg_u32 s3, 0
	; wave barrier
	s_cbranch_scc1 .LBB92_2
	s_branch .LBB92_4
.LBB92_3:
	v_mov_b32_e32 v67, 0
	v_mov_b64_e32 v[8:9], 0
	v_mov_b64_e32 v[4:5], 0
	v_mov_b32_e32 v59, v67
	v_mov_b32_e32 v55, v67
	;; [unrolled: 1-line block ×15, first 2 shown]
	v_mov_b64_e32 v[12:13], v[8:9]
	v_mov_b64_e32 v[16:17], v[8:9]
	;; [unrolled: 1-line block ×15, first 2 shown]
.LBB92_4:
	s_load_dwordx2 s[0:1], s[0:1], 0x0
	v_lshl_or_b32 v0, s2, 12, v66
	v_mov_b32_e32 v1, 0
	s_waitcnt lgkmcnt(0)
	v_lshl_add_u64 v[0:1], v[0:1], 4, s[0:1]
	global_store_dwordx4 v[0:1], v[62:65], off
	global_store_dwordx4 v[0:1], v[58:61], off offset:16
	global_store_dwordx4 v[0:1], v[54:57], off offset:32
	;; [unrolled: 1-line block ×15, first 2 shown]
	s_endpgm
	.section	.rodata,"a",@progbits
	.p2align	6, 0x0
	.amdhsa_kernel _Z20warp_exchange_kernelILj256ELj16ELj16E18ScatterToStripedOpoEvPT3_j
		.amdhsa_group_segment_fixed_size 65536
		.amdhsa_private_segment_fixed_size 0
		.amdhsa_kernarg_size 12
		.amdhsa_user_sgpr_count 2
		.amdhsa_user_sgpr_dispatch_ptr 0
		.amdhsa_user_sgpr_queue_ptr 0
		.amdhsa_user_sgpr_kernarg_segment_ptr 1
		.amdhsa_user_sgpr_dispatch_id 0
		.amdhsa_user_sgpr_kernarg_preload_length 0
		.amdhsa_user_sgpr_kernarg_preload_offset 0
		.amdhsa_user_sgpr_private_segment_size 0
		.amdhsa_uses_dynamic_stack 0
		.amdhsa_enable_private_segment 0
		.amdhsa_system_sgpr_workgroup_id_x 1
		.amdhsa_system_sgpr_workgroup_id_y 0
		.amdhsa_system_sgpr_workgroup_id_z 0
		.amdhsa_system_sgpr_workgroup_info 0
		.amdhsa_system_vgpr_workitem_id 0
		.amdhsa_next_free_vgpr 69
		.amdhsa_next_free_sgpr 4
		.amdhsa_accum_offset 72
		.amdhsa_reserve_vcc 0
		.amdhsa_float_round_mode_32 0
		.amdhsa_float_round_mode_16_64 0
		.amdhsa_float_denorm_mode_32 3
		.amdhsa_float_denorm_mode_16_64 3
		.amdhsa_dx10_clamp 1
		.amdhsa_ieee_mode 1
		.amdhsa_fp16_overflow 0
		.amdhsa_tg_split 0
		.amdhsa_exception_fp_ieee_invalid_op 0
		.amdhsa_exception_fp_denorm_src 0
		.amdhsa_exception_fp_ieee_div_zero 0
		.amdhsa_exception_fp_ieee_overflow 0
		.amdhsa_exception_fp_ieee_underflow 0
		.amdhsa_exception_fp_ieee_inexact 0
		.amdhsa_exception_int_div_zero 0
	.end_amdhsa_kernel
	.section	.text._Z20warp_exchange_kernelILj256ELj16ELj16E18ScatterToStripedOpoEvPT3_j,"axG",@progbits,_Z20warp_exchange_kernelILj256ELj16ELj16E18ScatterToStripedOpoEvPT3_j,comdat
.Lfunc_end92:
	.size	_Z20warp_exchange_kernelILj256ELj16ELj16E18ScatterToStripedOpoEvPT3_j, .Lfunc_end92-_Z20warp_exchange_kernelILj256ELj16ELj16E18ScatterToStripedOpoEvPT3_j
                                        ; -- End function
	.section	.AMDGPU.csdata,"",@progbits
; Kernel info:
; codeLenInByte = 888
; NumSgprs: 10
; NumVgprs: 69
; NumAgprs: 0
; TotalNumVgprs: 69
; ScratchSize: 0
; MemoryBound: 1
; FloatMode: 240
; IeeeMode: 1
; LDSByteSize: 65536 bytes/workgroup (compile time only)
; SGPRBlocks: 1
; VGPRBlocks: 8
; NumSGPRsForWavesPerEU: 10
; NumVGPRsForWavesPerEU: 69
; AccumOffset: 72
; Occupancy: 1
; WaveLimiterHint : 1
; COMPUTE_PGM_RSRC2:SCRATCH_EN: 0
; COMPUTE_PGM_RSRC2:USER_SGPR: 2
; COMPUTE_PGM_RSRC2:TRAP_HANDLER: 0
; COMPUTE_PGM_RSRC2:TGID_X_EN: 1
; COMPUTE_PGM_RSRC2:TGID_Y_EN: 0
; COMPUTE_PGM_RSRC2:TGID_Z_EN: 0
; COMPUTE_PGM_RSRC2:TIDIG_COMP_CNT: 0
; COMPUTE_PGM_RSRC3_GFX90A:ACCUM_OFFSET: 17
; COMPUTE_PGM_RSRC3_GFX90A:TG_SPLIT: 0
	.section	.text._Z20warp_exchange_kernelILj256ELj16ELj32E18ScatterToStripedOpoEvPT3_j,"axG",@progbits,_Z20warp_exchange_kernelILj256ELj16ELj32E18ScatterToStripedOpoEvPT3_j,comdat
	.protected	_Z20warp_exchange_kernelILj256ELj16ELj32E18ScatterToStripedOpoEvPT3_j ; -- Begin function _Z20warp_exchange_kernelILj256ELj16ELj32E18ScatterToStripedOpoEvPT3_j
	.globl	_Z20warp_exchange_kernelILj256ELj16ELj32E18ScatterToStripedOpoEvPT3_j
	.p2align	8
	.type	_Z20warp_exchange_kernelILj256ELj16ELj32E18ScatterToStripedOpoEvPT3_j,@function
_Z20warp_exchange_kernelILj256ELj16ELj32E18ScatterToStripedOpoEvPT3_j: ; @_Z20warp_exchange_kernelILj256ELj16ELj32E18ScatterToStripedOpoEvPT3_j
; %bb.0:
	s_load_dword s3, s[0:1], 0x8
	v_lshlrev_b32_e32 v66, 4, v0
	v_or_b32_e32 v58, 1, v66
	v_or_b32_e32 v54, 2, v66
	;; [unrolled: 1-line block ×14, first 2 shown]
	s_waitcnt lgkmcnt(0)
	s_cmp_eq_u32 s3, 0
	v_or_b32_e32 v2, 15, v66
	s_cbranch_scc1 .LBB93_3
; %bb.1:
	v_lshlrev_b32_e32 v0, 8, v0
	v_and_b32_e32 v5, 0xe000, v0
	v_mbcnt_lo_u32_b32 v0, -1, 0
	v_mov_b32_e32 v3, 0
	v_and_b32_e32 v4, 0x1f0, v66
	v_mbcnt_hi_u32_b32 v0, -1, v0
	v_mov_b64_e32 v[60:61], 0
	v_mov_b32_e32 v67, v3
	v_xor_b32_e32 v1, 0x1f0, v4
	v_and_b32_e32 v0, 31, v0
	v_mov_b64_e32 v[64:65], 0
	v_mov_b32_e32 v7, v3
	v_mov_b32_e32 v11, v3
	;; [unrolled: 1-line block ×14, first 2 shown]
	v_lshl_or_b32 v0, v0, 4, v5
	v_lshl_or_b32 v1, v1, 4, v5
	;; [unrolled: 1-line block ×3, first 2 shown]
	v_mov_b64_e32 v[62:63], v[66:67]
	v_mov_b64_e32 v[56:57], v[60:61]
	;; [unrolled: 1-line block ×15, first 2 shown]
.LBB93_2:                               ; =>This Inner Loop Header: Depth=1
	s_waitcnt lgkmcnt(14)
	ds_write_b128 v1, v[62:65]
	ds_write_b128 v68, v[58:61] offset:16
	s_waitcnt lgkmcnt(14)
	ds_write_b128 v1, v[54:57] offset:32
	ds_write_b128 v68, v[50:53] offset:48
	s_waitcnt lgkmcnt(14)
	ds_write_b128 v1, v[46:49] offset:64
	;; [unrolled: 3-line block ×7, first 2 shown]
	ds_write_b128 v68, v[2:5] offset:240
	; wave barrier
	ds_read_b128 v[62:65], v0
	ds_read_b128 v[58:61], v0 offset:512
	ds_read_b128 v[54:57], v0 offset:1024
	;; [unrolled: 1-line block ×15, first 2 shown]
	s_add_i32 s3, s3, -1
	s_cmp_lg_u32 s3, 0
	; wave barrier
	s_cbranch_scc1 .LBB93_2
	s_branch .LBB93_4
.LBB93_3:
	v_mov_b32_e32 v67, 0
	v_mov_b64_e32 v[8:9], 0
	v_mov_b64_e32 v[4:5], 0
	v_mov_b32_e32 v59, v67
	v_mov_b32_e32 v55, v67
	;; [unrolled: 1-line block ×15, first 2 shown]
	v_mov_b64_e32 v[12:13], v[8:9]
	v_mov_b64_e32 v[16:17], v[8:9]
	;; [unrolled: 1-line block ×15, first 2 shown]
.LBB93_4:
	s_load_dwordx2 s[0:1], s[0:1], 0x0
	v_lshl_or_b32 v0, s2, 12, v66
	v_mov_b32_e32 v1, 0
	s_waitcnt lgkmcnt(0)
	v_lshl_add_u64 v[0:1], v[0:1], 4, s[0:1]
	global_store_dwordx4 v[0:1], v[62:65], off
	global_store_dwordx4 v[0:1], v[58:61], off offset:16
	global_store_dwordx4 v[0:1], v[54:57], off offset:32
	;; [unrolled: 1-line block ×15, first 2 shown]
	s_endpgm
	.section	.rodata,"a",@progbits
	.p2align	6, 0x0
	.amdhsa_kernel _Z20warp_exchange_kernelILj256ELj16ELj32E18ScatterToStripedOpoEvPT3_j
		.amdhsa_group_segment_fixed_size 65536
		.amdhsa_private_segment_fixed_size 0
		.amdhsa_kernarg_size 12
		.amdhsa_user_sgpr_count 2
		.amdhsa_user_sgpr_dispatch_ptr 0
		.amdhsa_user_sgpr_queue_ptr 0
		.amdhsa_user_sgpr_kernarg_segment_ptr 1
		.amdhsa_user_sgpr_dispatch_id 0
		.amdhsa_user_sgpr_kernarg_preload_length 0
		.amdhsa_user_sgpr_kernarg_preload_offset 0
		.amdhsa_user_sgpr_private_segment_size 0
		.amdhsa_uses_dynamic_stack 0
		.amdhsa_enable_private_segment 0
		.amdhsa_system_sgpr_workgroup_id_x 1
		.amdhsa_system_sgpr_workgroup_id_y 0
		.amdhsa_system_sgpr_workgroup_id_z 0
		.amdhsa_system_sgpr_workgroup_info 0
		.amdhsa_system_vgpr_workitem_id 0
		.amdhsa_next_free_vgpr 69
		.amdhsa_next_free_sgpr 4
		.amdhsa_accum_offset 72
		.amdhsa_reserve_vcc 0
		.amdhsa_float_round_mode_32 0
		.amdhsa_float_round_mode_16_64 0
		.amdhsa_float_denorm_mode_32 3
		.amdhsa_float_denorm_mode_16_64 3
		.amdhsa_dx10_clamp 1
		.amdhsa_ieee_mode 1
		.amdhsa_fp16_overflow 0
		.amdhsa_tg_split 0
		.amdhsa_exception_fp_ieee_invalid_op 0
		.amdhsa_exception_fp_denorm_src 0
		.amdhsa_exception_fp_ieee_div_zero 0
		.amdhsa_exception_fp_ieee_overflow 0
		.amdhsa_exception_fp_ieee_underflow 0
		.amdhsa_exception_fp_ieee_inexact 0
		.amdhsa_exception_int_div_zero 0
	.end_amdhsa_kernel
	.section	.text._Z20warp_exchange_kernelILj256ELj16ELj32E18ScatterToStripedOpoEvPT3_j,"axG",@progbits,_Z20warp_exchange_kernelILj256ELj16ELj32E18ScatterToStripedOpoEvPT3_j,comdat
.Lfunc_end93:
	.size	_Z20warp_exchange_kernelILj256ELj16ELj32E18ScatterToStripedOpoEvPT3_j, .Lfunc_end93-_Z20warp_exchange_kernelILj256ELj16ELj32E18ScatterToStripedOpoEvPT3_j
                                        ; -- End function
	.section	.AMDGPU.csdata,"",@progbits
; Kernel info:
; codeLenInByte = 888
; NumSgprs: 10
; NumVgprs: 69
; NumAgprs: 0
; TotalNumVgprs: 69
; ScratchSize: 0
; MemoryBound: 1
; FloatMode: 240
; IeeeMode: 1
; LDSByteSize: 65536 bytes/workgroup (compile time only)
; SGPRBlocks: 1
; VGPRBlocks: 8
; NumSGPRsForWavesPerEU: 10
; NumVGPRsForWavesPerEU: 69
; AccumOffset: 72
; Occupancy: 1
; WaveLimiterHint : 1
; COMPUTE_PGM_RSRC2:SCRATCH_EN: 0
; COMPUTE_PGM_RSRC2:USER_SGPR: 2
; COMPUTE_PGM_RSRC2:TRAP_HANDLER: 0
; COMPUTE_PGM_RSRC2:TGID_X_EN: 1
; COMPUTE_PGM_RSRC2:TGID_Y_EN: 0
; COMPUTE_PGM_RSRC2:TGID_Z_EN: 0
; COMPUTE_PGM_RSRC2:TIDIG_COMP_CNT: 0
; COMPUTE_PGM_RSRC3_GFX90A:ACCUM_OFFSET: 17
; COMPUTE_PGM_RSRC3_GFX90A:TG_SPLIT: 0
	.section	.text._Z20warp_exchange_kernelILj256ELj1ELj64EN6common18BlockedToStripedOpEiEvPT3_j,"axG",@progbits,_Z20warp_exchange_kernelILj256ELj1ELj64EN6common18BlockedToStripedOpEiEvPT3_j,comdat
	.protected	_Z20warp_exchange_kernelILj256ELj1ELj64EN6common18BlockedToStripedOpEiEvPT3_j ; -- Begin function _Z20warp_exchange_kernelILj256ELj1ELj64EN6common18BlockedToStripedOpEiEvPT3_j
	.globl	_Z20warp_exchange_kernelILj256ELj1ELj64EN6common18BlockedToStripedOpEiEvPT3_j
	.p2align	8
	.type	_Z20warp_exchange_kernelILj256ELj1ELj64EN6common18BlockedToStripedOpEiEvPT3_j,@function
_Z20warp_exchange_kernelILj256ELj1ELj64EN6common18BlockedToStripedOpEiEvPT3_j: ; @_Z20warp_exchange_kernelILj256ELj1ELj64EN6common18BlockedToStripedOpEiEvPT3_j
; %bb.0:
	s_load_dword s3, s[0:1], 0x8
	s_waitcnt lgkmcnt(0)
	s_cmp_eq_u32 s3, 0
	s_cbranch_scc1 .LBB94_3
; %bb.1:
	v_lshlrev_b32_e32 v1, 2, v0
	v_mbcnt_lo_u32_b32 v2, -1, 0
	v_and_b32_e32 v1, 0x300, v1
	v_mbcnt_hi_u32_b32 v2, -1, v2
	v_lshl_add_u32 v2, v2, 2, v1
	v_mov_b32_e32 v1, v0
.LBB94_2:                               ; =>This Inner Loop Header: Depth=1
	s_waitcnt lgkmcnt(0)
	ds_write_b32 v2, v1
	; wave barrier
	ds_read_b32 v1, v2
	s_add_i32 s3, s3, -1
	s_cmp_lg_u32 s3, 0
	; wave barrier
	s_cbranch_scc1 .LBB94_2
	s_branch .LBB94_4
.LBB94_3:
	v_mov_b32_e32 v1, v0
.LBB94_4:
	s_load_dwordx2 s[0:1], s[0:1], 0x0
	v_lshl_or_b32 v2, s2, 8, v0
	v_mov_b32_e32 v3, 0
	s_waitcnt lgkmcnt(0)
	v_lshl_add_u64 v[2:3], v[2:3], 2, s[0:1]
	global_store_dword v[2:3], v1, off
	s_endpgm
	.section	.rodata,"a",@progbits
	.p2align	6, 0x0
	.amdhsa_kernel _Z20warp_exchange_kernelILj256ELj1ELj64EN6common18BlockedToStripedOpEiEvPT3_j
		.amdhsa_group_segment_fixed_size 1024
		.amdhsa_private_segment_fixed_size 0
		.amdhsa_kernarg_size 12
		.amdhsa_user_sgpr_count 2
		.amdhsa_user_sgpr_dispatch_ptr 0
		.amdhsa_user_sgpr_queue_ptr 0
		.amdhsa_user_sgpr_kernarg_segment_ptr 1
		.amdhsa_user_sgpr_dispatch_id 0
		.amdhsa_user_sgpr_kernarg_preload_length 0
		.amdhsa_user_sgpr_kernarg_preload_offset 0
		.amdhsa_user_sgpr_private_segment_size 0
		.amdhsa_uses_dynamic_stack 0
		.amdhsa_enable_private_segment 0
		.amdhsa_system_sgpr_workgroup_id_x 1
		.amdhsa_system_sgpr_workgroup_id_y 0
		.amdhsa_system_sgpr_workgroup_id_z 0
		.amdhsa_system_sgpr_workgroup_info 0
		.amdhsa_system_vgpr_workitem_id 0
		.amdhsa_next_free_vgpr 4
		.amdhsa_next_free_sgpr 4
		.amdhsa_accum_offset 4
		.amdhsa_reserve_vcc 0
		.amdhsa_float_round_mode_32 0
		.amdhsa_float_round_mode_16_64 0
		.amdhsa_float_denorm_mode_32 3
		.amdhsa_float_denorm_mode_16_64 3
		.amdhsa_dx10_clamp 1
		.amdhsa_ieee_mode 1
		.amdhsa_fp16_overflow 0
		.amdhsa_tg_split 0
		.amdhsa_exception_fp_ieee_invalid_op 0
		.amdhsa_exception_fp_denorm_src 0
		.amdhsa_exception_fp_ieee_div_zero 0
		.amdhsa_exception_fp_ieee_overflow 0
		.amdhsa_exception_fp_ieee_underflow 0
		.amdhsa_exception_fp_ieee_inexact 0
		.amdhsa_exception_int_div_zero 0
	.end_amdhsa_kernel
	.section	.text._Z20warp_exchange_kernelILj256ELj1ELj64EN6common18BlockedToStripedOpEiEvPT3_j,"axG",@progbits,_Z20warp_exchange_kernelILj256ELj1ELj64EN6common18BlockedToStripedOpEiEvPT3_j,comdat
.Lfunc_end94:
	.size	_Z20warp_exchange_kernelILj256ELj1ELj64EN6common18BlockedToStripedOpEiEvPT3_j, .Lfunc_end94-_Z20warp_exchange_kernelILj256ELj1ELj64EN6common18BlockedToStripedOpEiEvPT3_j
                                        ; -- End function
	.section	.AMDGPU.csdata,"",@progbits
; Kernel info:
; codeLenInByte = 144
; NumSgprs: 10
; NumVgprs: 4
; NumAgprs: 0
; TotalNumVgprs: 4
; ScratchSize: 0
; MemoryBound: 0
; FloatMode: 240
; IeeeMode: 1
; LDSByteSize: 1024 bytes/workgroup (compile time only)
; SGPRBlocks: 1
; VGPRBlocks: 0
; NumSGPRsForWavesPerEU: 10
; NumVGPRsForWavesPerEU: 4
; AccumOffset: 4
; Occupancy: 8
; WaveLimiterHint : 0
; COMPUTE_PGM_RSRC2:SCRATCH_EN: 0
; COMPUTE_PGM_RSRC2:USER_SGPR: 2
; COMPUTE_PGM_RSRC2:TRAP_HANDLER: 0
; COMPUTE_PGM_RSRC2:TGID_X_EN: 1
; COMPUTE_PGM_RSRC2:TGID_Y_EN: 0
; COMPUTE_PGM_RSRC2:TGID_Z_EN: 0
; COMPUTE_PGM_RSRC2:TIDIG_COMP_CNT: 0
; COMPUTE_PGM_RSRC3_GFX90A:ACCUM_OFFSET: 0
; COMPUTE_PGM_RSRC3_GFX90A:TG_SPLIT: 0
	.section	.text._Z20warp_exchange_kernelILj256ELj4ELj64EN6common18BlockedToStripedOpEiEvPT3_j,"axG",@progbits,_Z20warp_exchange_kernelILj256ELj4ELj64EN6common18BlockedToStripedOpEiEvPT3_j,comdat
	.protected	_Z20warp_exchange_kernelILj256ELj4ELj64EN6common18BlockedToStripedOpEiEvPT3_j ; -- Begin function _Z20warp_exchange_kernelILj256ELj4ELj64EN6common18BlockedToStripedOpEiEvPT3_j
	.globl	_Z20warp_exchange_kernelILj256ELj4ELj64EN6common18BlockedToStripedOpEiEvPT3_j
	.p2align	8
	.type	_Z20warp_exchange_kernelILj256ELj4ELj64EN6common18BlockedToStripedOpEiEvPT3_j,@function
_Z20warp_exchange_kernelILj256ELj4ELj64EN6common18BlockedToStripedOpEiEvPT3_j: ; @_Z20warp_exchange_kernelILj256ELj4ELj64EN6common18BlockedToStripedOpEiEvPT3_j
; %bb.0:
	s_load_dword s3, s[0:1], 0x8
	v_lshlrev_b32_e32 v2, 2, v0
	v_or_b32_e32 v5, 1, v2
	v_or_b32_e32 v6, 2, v2
	;; [unrolled: 1-line block ×3, first 2 shown]
	s_waitcnt lgkmcnt(0)
	s_cmp_eq_u32 s3, 0
	s_cbranch_scc1 .LBB95_3
; %bb.1:
	v_lshlrev_b32_e32 v0, 4, v0
	v_and_b32_e32 v1, 0xc00, v0
	v_mbcnt_lo_u32_b32 v0, -1, 0
	v_mbcnt_hi_u32_b32 v3, -1, v0
	v_lshl_add_u32 v0, v3, 4, v1
	v_lshl_or_b32 v1, v3, 2, v1
	v_mov_b32_e32 v4, v2
.LBB95_2:                               ; =>This Inner Loop Header: Depth=1
	s_waitcnt lgkmcnt(0)
	ds_write_b128 v0, v[4:7]
	; wave barrier
	ds_read2st64_b32 v[4:5], v1 offset1:1
	ds_read2st64_b32 v[6:7], v1 offset0:2 offset1:3
	s_add_i32 s3, s3, -1
	s_cmp_lg_u32 s3, 0
	; wave barrier
	s_cbranch_scc1 .LBB95_2
	s_branch .LBB95_4
.LBB95_3:
	v_mov_b32_e32 v3, v5
	v_mov_b32_e32 v4, v6
	;; [unrolled: 1-line block ×3, first 2 shown]
	v_mov_b64_e32 v[6:7], v[4:5]
	v_mov_b64_e32 v[4:5], v[2:3]
.LBB95_4:
	s_load_dwordx2 s[0:1], s[0:1], 0x0
	v_lshl_or_b32 v0, s2, 10, v2
	v_mov_b32_e32 v1, 0
	s_waitcnt lgkmcnt(0)
	v_lshl_add_u64 v[0:1], v[0:1], 2, s[0:1]
	global_store_dwordx4 v[0:1], v[4:7], off
	s_endpgm
	.section	.rodata,"a",@progbits
	.p2align	6, 0x0
	.amdhsa_kernel _Z20warp_exchange_kernelILj256ELj4ELj64EN6common18BlockedToStripedOpEiEvPT3_j
		.amdhsa_group_segment_fixed_size 4096
		.amdhsa_private_segment_fixed_size 0
		.amdhsa_kernarg_size 12
		.amdhsa_user_sgpr_count 2
		.amdhsa_user_sgpr_dispatch_ptr 0
		.amdhsa_user_sgpr_queue_ptr 0
		.amdhsa_user_sgpr_kernarg_segment_ptr 1
		.amdhsa_user_sgpr_dispatch_id 0
		.amdhsa_user_sgpr_kernarg_preload_length 0
		.amdhsa_user_sgpr_kernarg_preload_offset 0
		.amdhsa_user_sgpr_private_segment_size 0
		.amdhsa_uses_dynamic_stack 0
		.amdhsa_enable_private_segment 0
		.amdhsa_system_sgpr_workgroup_id_x 1
		.amdhsa_system_sgpr_workgroup_id_y 0
		.amdhsa_system_sgpr_workgroup_id_z 0
		.amdhsa_system_sgpr_workgroup_info 0
		.amdhsa_system_vgpr_workitem_id 0
		.amdhsa_next_free_vgpr 8
		.amdhsa_next_free_sgpr 4
		.amdhsa_accum_offset 8
		.amdhsa_reserve_vcc 0
		.amdhsa_float_round_mode_32 0
		.amdhsa_float_round_mode_16_64 0
		.amdhsa_float_denorm_mode_32 3
		.amdhsa_float_denorm_mode_16_64 3
		.amdhsa_dx10_clamp 1
		.amdhsa_ieee_mode 1
		.amdhsa_fp16_overflow 0
		.amdhsa_tg_split 0
		.amdhsa_exception_fp_ieee_invalid_op 0
		.amdhsa_exception_fp_denorm_src 0
		.amdhsa_exception_fp_ieee_div_zero 0
		.amdhsa_exception_fp_ieee_overflow 0
		.amdhsa_exception_fp_ieee_underflow 0
		.amdhsa_exception_fp_ieee_inexact 0
		.amdhsa_exception_int_div_zero 0
	.end_amdhsa_kernel
	.section	.text._Z20warp_exchange_kernelILj256ELj4ELj64EN6common18BlockedToStripedOpEiEvPT3_j,"axG",@progbits,_Z20warp_exchange_kernelILj256ELj4ELj64EN6common18BlockedToStripedOpEiEvPT3_j,comdat
.Lfunc_end95:
	.size	_Z20warp_exchange_kernelILj256ELj4ELj64EN6common18BlockedToStripedOpEiEvPT3_j, .Lfunc_end95-_Z20warp_exchange_kernelILj256ELj4ELj64EN6common18BlockedToStripedOpEiEvPT3_j
                                        ; -- End function
	.section	.AMDGPU.csdata,"",@progbits
; Kernel info:
; codeLenInByte = 192
; NumSgprs: 10
; NumVgprs: 8
; NumAgprs: 0
; TotalNumVgprs: 8
; ScratchSize: 0
; MemoryBound: 0
; FloatMode: 240
; IeeeMode: 1
; LDSByteSize: 4096 bytes/workgroup (compile time only)
; SGPRBlocks: 1
; VGPRBlocks: 0
; NumSGPRsForWavesPerEU: 10
; NumVGPRsForWavesPerEU: 8
; AccumOffset: 8
; Occupancy: 8
; WaveLimiterHint : 0
; COMPUTE_PGM_RSRC2:SCRATCH_EN: 0
; COMPUTE_PGM_RSRC2:USER_SGPR: 2
; COMPUTE_PGM_RSRC2:TRAP_HANDLER: 0
; COMPUTE_PGM_RSRC2:TGID_X_EN: 1
; COMPUTE_PGM_RSRC2:TGID_Y_EN: 0
; COMPUTE_PGM_RSRC2:TGID_Z_EN: 0
; COMPUTE_PGM_RSRC2:TIDIG_COMP_CNT: 0
; COMPUTE_PGM_RSRC3_GFX90A:ACCUM_OFFSET: 1
; COMPUTE_PGM_RSRC3_GFX90A:TG_SPLIT: 0
	.section	.text._Z20warp_exchange_kernelILj256ELj16ELj64EN6common18BlockedToStripedOpEiEvPT3_j,"axG",@progbits,_Z20warp_exchange_kernelILj256ELj16ELj64EN6common18BlockedToStripedOpEiEvPT3_j,comdat
	.protected	_Z20warp_exchange_kernelILj256ELj16ELj64EN6common18BlockedToStripedOpEiEvPT3_j ; -- Begin function _Z20warp_exchange_kernelILj256ELj16ELj64EN6common18BlockedToStripedOpEiEvPT3_j
	.globl	_Z20warp_exchange_kernelILj256ELj16ELj64EN6common18BlockedToStripedOpEiEvPT3_j
	.p2align	8
	.type	_Z20warp_exchange_kernelILj256ELj16ELj64EN6common18BlockedToStripedOpEiEvPT3_j,@function
_Z20warp_exchange_kernelILj256ELj16ELj64EN6common18BlockedToStripedOpEiEvPT3_j: ; @_Z20warp_exchange_kernelILj256ELj16ELj64EN6common18BlockedToStripedOpEiEvPT3_j
; %bb.0:
	s_load_dword s3, s[0:1], 0x8
	v_lshlrev_b32_e32 v16, 4, v0
	v_or_b32_e32 v17, 1, v16
	v_or_b32_e32 v18, 2, v16
	;; [unrolled: 1-line block ×14, first 2 shown]
	s_waitcnt lgkmcnt(0)
	s_cmp_lg_u32 s3, 0
	v_or_b32_e32 v31, 15, v16
	s_cbranch_scc0 .LBB96_6
; %bb.1:
	v_lshlrev_b32_e32 v0, 6, v0
	v_mbcnt_lo_u32_b32 v1, -1, 0
	v_and_b32_e32 v0, 0x3000, v0
	v_mbcnt_hi_u32_b32 v1, -1, v1
	v_lshl_add_u32 v32, v1, 6, v0
	v_lshl_or_b32 v33, v1, 2, v0
	v_mov_b32_e32 v8, v16
	v_mov_b32_e32 v9, v17
	;; [unrolled: 1-line block ×16, first 2 shown]
.LBB96_2:                               ; =>This Inner Loop Header: Depth=1
	s_waitcnt lgkmcnt(6)
	ds_write_b128 v32, v[8:11]
	s_waitcnt lgkmcnt(5)
	ds_write_b128 v32, v[12:15] offset:16
	s_waitcnt lgkmcnt(4)
	ds_write_b128 v32, v[4:7] offset:32
	;; [unrolled: 2-line block ×3, first 2 shown]
	; wave barrier
	ds_read2st64_b32 v[8:9], v33 offset1:1
	ds_read2st64_b32 v[10:11], v33 offset0:2 offset1:3
	ds_read2st64_b32 v[12:13], v33 offset0:4 offset1:5
	;; [unrolled: 1-line block ×7, first 2 shown]
	s_add_i32 s3, s3, -1
	s_cmp_lg_u32 s3, 0
	; wave barrier
	s_cbranch_scc1 .LBB96_2
; %bb.3:
	s_branch .LBB96_5
.LBB96_4:
	s_waitcnt lgkmcnt(6)
	v_mov_b64_e32 v[10:11], v[18:19]
	s_waitcnt lgkmcnt(5)
	v_mov_b64_e32 v[12:13], v[20:21]
	s_waitcnt lgkmcnt(4)
	v_mov_b64_e32 v[14:15], v[22:23]
	s_waitcnt lgkmcnt(3)
	v_mov_b64_e32 v[4:5], v[24:25]
	s_waitcnt lgkmcnt(2)
	v_mov_b64_e32 v[6:7], v[26:27]
	s_waitcnt lgkmcnt(1)
	v_mov_b64_e32 v[0:1], v[28:29]
	s_waitcnt lgkmcnt(0)
	v_mov_b64_e32 v[2:3], v[30:31]
	v_mov_b64_e32 v[8:9], v[16:17]
.LBB96_5:
	s_load_dwordx2 s[0:1], s[0:1], 0x0
	v_lshl_or_b32 v16, s2, 12, v16
	v_mov_b32_e32 v17, 0
	s_waitcnt lgkmcnt(0)
	v_lshl_add_u64 v[16:17], v[16:17], 2, s[0:1]
	global_store_dwordx4 v[16:17], v[8:11], off
	global_store_dwordx4 v[16:17], v[12:15], off offset:16
	global_store_dwordx4 v[16:17], v[4:7], off offset:32
	;; [unrolled: 1-line block ×3, first 2 shown]
	s_endpgm
.LBB96_6:
                                        ; implicit-def: $vgpr8_vgpr9
                                        ; implicit-def: $vgpr2_vgpr3
                                        ; implicit-def: $vgpr6_vgpr7
                                        ; implicit-def: $vgpr14_vgpr15
	s_cbranch_execnz .LBB96_4
	s_branch .LBB96_5
	.section	.rodata,"a",@progbits
	.p2align	6, 0x0
	.amdhsa_kernel _Z20warp_exchange_kernelILj256ELj16ELj64EN6common18BlockedToStripedOpEiEvPT3_j
		.amdhsa_group_segment_fixed_size 16384
		.amdhsa_private_segment_fixed_size 0
		.amdhsa_kernarg_size 12
		.amdhsa_user_sgpr_count 2
		.amdhsa_user_sgpr_dispatch_ptr 0
		.amdhsa_user_sgpr_queue_ptr 0
		.amdhsa_user_sgpr_kernarg_segment_ptr 1
		.amdhsa_user_sgpr_dispatch_id 0
		.amdhsa_user_sgpr_kernarg_preload_length 0
		.amdhsa_user_sgpr_kernarg_preload_offset 0
		.amdhsa_user_sgpr_private_segment_size 0
		.amdhsa_uses_dynamic_stack 0
		.amdhsa_enable_private_segment 0
		.amdhsa_system_sgpr_workgroup_id_x 1
		.amdhsa_system_sgpr_workgroup_id_y 0
		.amdhsa_system_sgpr_workgroup_id_z 0
		.amdhsa_system_sgpr_workgroup_info 0
		.amdhsa_system_vgpr_workitem_id 0
		.amdhsa_next_free_vgpr 34
		.amdhsa_next_free_sgpr 4
		.amdhsa_accum_offset 36
		.amdhsa_reserve_vcc 0
		.amdhsa_float_round_mode_32 0
		.amdhsa_float_round_mode_16_64 0
		.amdhsa_float_denorm_mode_32 3
		.amdhsa_float_denorm_mode_16_64 3
		.amdhsa_dx10_clamp 1
		.amdhsa_ieee_mode 1
		.amdhsa_fp16_overflow 0
		.amdhsa_tg_split 0
		.amdhsa_exception_fp_ieee_invalid_op 0
		.amdhsa_exception_fp_denorm_src 0
		.amdhsa_exception_fp_ieee_div_zero 0
		.amdhsa_exception_fp_ieee_overflow 0
		.amdhsa_exception_fp_ieee_underflow 0
		.amdhsa_exception_fp_ieee_inexact 0
		.amdhsa_exception_int_div_zero 0
	.end_amdhsa_kernel
	.section	.text._Z20warp_exchange_kernelILj256ELj16ELj64EN6common18BlockedToStripedOpEiEvPT3_j,"axG",@progbits,_Z20warp_exchange_kernelILj256ELj16ELj64EN6common18BlockedToStripedOpEiEvPT3_j,comdat
.Lfunc_end96:
	.size	_Z20warp_exchange_kernelILj256ELj16ELj64EN6common18BlockedToStripedOpEiEvPT3_j, .Lfunc_end96-_Z20warp_exchange_kernelILj256ELj16ELj64EN6common18BlockedToStripedOpEiEvPT3_j
                                        ; -- End function
	.section	.AMDGPU.csdata,"",@progbits
; Kernel info:
; codeLenInByte = 456
; NumSgprs: 10
; NumVgprs: 34
; NumAgprs: 0
; TotalNumVgprs: 34
; ScratchSize: 0
; MemoryBound: 0
; FloatMode: 240
; IeeeMode: 1
; LDSByteSize: 16384 bytes/workgroup (compile time only)
; SGPRBlocks: 1
; VGPRBlocks: 4
; NumSGPRsForWavesPerEU: 10
; NumVGPRsForWavesPerEU: 34
; AccumOffset: 36
; Occupancy: 4
; WaveLimiterHint : 0
; COMPUTE_PGM_RSRC2:SCRATCH_EN: 0
; COMPUTE_PGM_RSRC2:USER_SGPR: 2
; COMPUTE_PGM_RSRC2:TRAP_HANDLER: 0
; COMPUTE_PGM_RSRC2:TGID_X_EN: 1
; COMPUTE_PGM_RSRC2:TGID_Y_EN: 0
; COMPUTE_PGM_RSRC2:TGID_Z_EN: 0
; COMPUTE_PGM_RSRC2:TIDIG_COMP_CNT: 0
; COMPUTE_PGM_RSRC3_GFX90A:ACCUM_OFFSET: 8
; COMPUTE_PGM_RSRC3_GFX90A:TG_SPLIT: 0
	.section	.text._Z20warp_exchange_kernelILj256ELj64ELj64EN6common18BlockedToStripedOpEiEvPT3_j,"axG",@progbits,_Z20warp_exchange_kernelILj256ELj64ELj64EN6common18BlockedToStripedOpEiEvPT3_j,comdat
	.protected	_Z20warp_exchange_kernelILj256ELj64ELj64EN6common18BlockedToStripedOpEiEvPT3_j ; -- Begin function _Z20warp_exchange_kernelILj256ELj64ELj64EN6common18BlockedToStripedOpEiEvPT3_j
	.globl	_Z20warp_exchange_kernelILj256ELj64ELj64EN6common18BlockedToStripedOpEiEvPT3_j
	.p2align	8
	.type	_Z20warp_exchange_kernelILj256ELj64ELj64EN6common18BlockedToStripedOpEiEvPT3_j,@function
_Z20warp_exchange_kernelILj256ELj64ELj64EN6common18BlockedToStripedOpEiEvPT3_j: ; @_Z20warp_exchange_kernelILj256ELj64ELj64EN6common18BlockedToStripedOpEiEvPT3_j
; %bb.0:
	s_load_dword s3, s[0:1], 0x8
	v_lshlrev_b32_e32 v64, 6, v0
	v_or_b32_e32 v65, 1, v64
	v_or_b32_e32 v66, 2, v64
	;; [unrolled: 1-line block ×62, first 2 shown]
	s_waitcnt lgkmcnt(0)
	s_cmp_lg_u32 s3, 0
	v_or_b32_e32 v127, 63, v64
	s_cbranch_scc0 .LBB97_6
; %bb.1:
	v_lshlrev_b32_e32 v0, 8, v0
	v_mbcnt_lo_u32_b32 v1, -1, 0
	v_and_b32_e32 v0, 0xc000, v0
	v_mbcnt_hi_u32_b32 v1, -1, v1
	v_lshl_add_u32 v128, v1, 8, v0
	v_lshl_or_b32 v129, v1, 2, v0
	v_mov_b32_e32 v32, v64
	v_mov_b32_e32 v33, v65
	;; [unrolled: 1-line block ×64, first 2 shown]
.LBB97_2:                               ; =>This Inner Loop Header: Depth=1
	s_waitcnt lgkmcnt(14)
	ds_write_b128 v128, v[32:35]
	ds_write_b128 v128, v[60:63] offset:16
	ds_write_b128 v128, v[56:59] offset:32
	;; [unrolled: 1-line block ×8, first 2 shown]
	s_waitcnt lgkmcnt(14)
	ds_write_b128 v128, v[24:27] offset:144
	ds_write_b128 v128, v[20:23] offset:160
	;; [unrolled: 1-line block ×4, first 2 shown]
	s_waitcnt lgkmcnt(14)
	ds_write_b128 v128, v[8:11] offset:208
	ds_write_b128 v128, v[4:7] offset:224
	s_waitcnt lgkmcnt(14)
	ds_write_b128 v128, v[0:3] offset:240
	; wave barrier
	ds_read2st64_b32 v[32:33], v129 offset1:1
	ds_read2st64_b32 v[34:35], v129 offset0:2 offset1:3
	ds_read2st64_b32 v[60:61], v129 offset0:4 offset1:5
	;; [unrolled: 1-line block ×31, first 2 shown]
	s_add_i32 s3, s3, -1
	s_cmp_lg_u32 s3, 0
	; wave barrier
	s_cbranch_scc1 .LBB97_2
; %bb.3:
	s_branch .LBB97_5
.LBB97_4:
	s_waitcnt lgkmcnt(14)
	v_mov_b64_e32 v[34:35], v[66:67]
	v_mov_b64_e32 v[60:61], v[68:69]
	;; [unrolled: 1-line block ×17, first 2 shown]
	s_waitcnt lgkmcnt(13)
	v_mov_b64_e32 v[24:25], v[100:101]
	s_waitcnt lgkmcnt(12)
	v_mov_b64_e32 v[26:27], v[102:103]
	;; [unrolled: 2-line block ×14, first 2 shown]
	v_mov_b64_e32 v[32:33], v[64:65]
.LBB97_5:
	s_load_dwordx2 s[0:1], s[0:1], 0x0
	v_lshl_or_b32 v64, s2, 14, v64
	v_mov_b32_e32 v65, 0
	s_waitcnt lgkmcnt(0)
	v_lshl_add_u64 v[64:65], v[64:65], 2, s[0:1]
	global_store_dwordx4 v[64:65], v[32:35], off
	global_store_dwordx4 v[64:65], v[60:63], off offset:16
	global_store_dwordx4 v[64:65], v[56:59], off offset:32
	;; [unrolled: 1-line block ×15, first 2 shown]
	s_endpgm
.LBB97_6:
                                        ; implicit-def: $vgpr32_vgpr33
                                        ; implicit-def: $vgpr2_vgpr3
                                        ; implicit-def: $vgpr6_vgpr7
                                        ; implicit-def: $vgpr10_vgpr11
                                        ; implicit-def: $vgpr14_vgpr15
                                        ; implicit-def: $vgpr18_vgpr19
                                        ; implicit-def: $vgpr22_vgpr23
                                        ; implicit-def: $vgpr26_vgpr27
                                        ; implicit-def: $vgpr30_vgpr31
                                        ; implicit-def: $vgpr38_vgpr39
                                        ; implicit-def: $vgpr42_vgpr43
                                        ; implicit-def: $vgpr46_vgpr47
                                        ; implicit-def: $vgpr50_vgpr51
                                        ; implicit-def: $vgpr54_vgpr55
                                        ; implicit-def: $vgpr58_vgpr59
                                        ; implicit-def: $vgpr62_vgpr63
	s_cbranch_execnz .LBB97_4
	s_branch .LBB97_5
	.section	.rodata,"a",@progbits
	.p2align	6, 0x0
	.amdhsa_kernel _Z20warp_exchange_kernelILj256ELj64ELj64EN6common18BlockedToStripedOpEiEvPT3_j
		.amdhsa_group_segment_fixed_size 65536
		.amdhsa_private_segment_fixed_size 0
		.amdhsa_kernarg_size 12
		.amdhsa_user_sgpr_count 2
		.amdhsa_user_sgpr_dispatch_ptr 0
		.amdhsa_user_sgpr_queue_ptr 0
		.amdhsa_user_sgpr_kernarg_segment_ptr 1
		.amdhsa_user_sgpr_dispatch_id 0
		.amdhsa_user_sgpr_kernarg_preload_length 0
		.amdhsa_user_sgpr_kernarg_preload_offset 0
		.amdhsa_user_sgpr_private_segment_size 0
		.amdhsa_uses_dynamic_stack 0
		.amdhsa_enable_private_segment 0
		.amdhsa_system_sgpr_workgroup_id_x 1
		.amdhsa_system_sgpr_workgroup_id_y 0
		.amdhsa_system_sgpr_workgroup_id_z 0
		.amdhsa_system_sgpr_workgroup_info 0
		.amdhsa_system_vgpr_workitem_id 0
		.amdhsa_next_free_vgpr 130
		.amdhsa_next_free_sgpr 4
		.amdhsa_accum_offset 132
		.amdhsa_reserve_vcc 0
		.amdhsa_float_round_mode_32 0
		.amdhsa_float_round_mode_16_64 0
		.amdhsa_float_denorm_mode_32 3
		.amdhsa_float_denorm_mode_16_64 3
		.amdhsa_dx10_clamp 1
		.amdhsa_ieee_mode 1
		.amdhsa_fp16_overflow 0
		.amdhsa_tg_split 0
		.amdhsa_exception_fp_ieee_invalid_op 0
		.amdhsa_exception_fp_denorm_src 0
		.amdhsa_exception_fp_ieee_div_zero 0
		.amdhsa_exception_fp_ieee_overflow 0
		.amdhsa_exception_fp_ieee_underflow 0
		.amdhsa_exception_fp_ieee_inexact 0
		.amdhsa_exception_int_div_zero 0
	.end_amdhsa_kernel
	.section	.text._Z20warp_exchange_kernelILj256ELj64ELj64EN6common18BlockedToStripedOpEiEvPT3_j,"axG",@progbits,_Z20warp_exchange_kernelILj256ELj64ELj64EN6common18BlockedToStripedOpEiEvPT3_j,comdat
.Lfunc_end97:
	.size	_Z20warp_exchange_kernelILj256ELj64ELj64EN6common18BlockedToStripedOpEiEvPT3_j, .Lfunc_end97-_Z20warp_exchange_kernelILj256ELj64ELj64EN6common18BlockedToStripedOpEiEvPT3_j
                                        ; -- End function
	.section	.AMDGPU.csdata,"",@progbits
; Kernel info:
; codeLenInByte = 1352
; NumSgprs: 10
; NumVgprs: 130
; NumAgprs: 0
; TotalNumVgprs: 130
; ScratchSize: 0
; MemoryBound: 0
; FloatMode: 240
; IeeeMode: 1
; LDSByteSize: 65536 bytes/workgroup (compile time only)
; SGPRBlocks: 1
; VGPRBlocks: 16
; NumSGPRsForWavesPerEU: 10
; NumVGPRsForWavesPerEU: 130
; AccumOffset: 132
; Occupancy: 1
; WaveLimiterHint : 0
; COMPUTE_PGM_RSRC2:SCRATCH_EN: 0
; COMPUTE_PGM_RSRC2:USER_SGPR: 2
; COMPUTE_PGM_RSRC2:TRAP_HANDLER: 0
; COMPUTE_PGM_RSRC2:TGID_X_EN: 1
; COMPUTE_PGM_RSRC2:TGID_Y_EN: 0
; COMPUTE_PGM_RSRC2:TGID_Z_EN: 0
; COMPUTE_PGM_RSRC2:TIDIG_COMP_CNT: 0
; COMPUTE_PGM_RSRC3_GFX90A:ACCUM_OFFSET: 32
; COMPUTE_PGM_RSRC3_GFX90A:TG_SPLIT: 0
	.section	.text._Z20warp_exchange_kernelILj256ELj1ELj64EN6common18StripedToBlockedOpEiEvPT3_j,"axG",@progbits,_Z20warp_exchange_kernelILj256ELj1ELj64EN6common18StripedToBlockedOpEiEvPT3_j,comdat
	.protected	_Z20warp_exchange_kernelILj256ELj1ELj64EN6common18StripedToBlockedOpEiEvPT3_j ; -- Begin function _Z20warp_exchange_kernelILj256ELj1ELj64EN6common18StripedToBlockedOpEiEvPT3_j
	.globl	_Z20warp_exchange_kernelILj256ELj1ELj64EN6common18StripedToBlockedOpEiEvPT3_j
	.p2align	8
	.type	_Z20warp_exchange_kernelILj256ELj1ELj64EN6common18StripedToBlockedOpEiEvPT3_j,@function
_Z20warp_exchange_kernelILj256ELj1ELj64EN6common18StripedToBlockedOpEiEvPT3_j: ; @_Z20warp_exchange_kernelILj256ELj1ELj64EN6common18StripedToBlockedOpEiEvPT3_j
; %bb.0:
	s_load_dword s3, s[0:1], 0x8
	s_waitcnt lgkmcnt(0)
	s_cmp_eq_u32 s3, 0
	s_cbranch_scc1 .LBB98_3
; %bb.1:
	v_lshlrev_b32_e32 v1, 2, v0
	v_mbcnt_lo_u32_b32 v2, -1, 0
	v_and_b32_e32 v1, 0x300, v1
	v_mbcnt_hi_u32_b32 v2, -1, v2
	v_lshl_add_u32 v2, v2, 2, v1
	v_mov_b32_e32 v1, v0
.LBB98_2:                               ; =>This Inner Loop Header: Depth=1
	s_waitcnt lgkmcnt(0)
	ds_write_b32 v2, v1
	; wave barrier
	ds_read_b32 v1, v2
	s_add_i32 s3, s3, -1
	s_cmp_lg_u32 s3, 0
	; wave barrier
	s_cbranch_scc1 .LBB98_2
	s_branch .LBB98_4
.LBB98_3:
	v_mov_b32_e32 v1, v0
.LBB98_4:
	s_load_dwordx2 s[0:1], s[0:1], 0x0
	v_lshl_or_b32 v2, s2, 8, v0
	v_mov_b32_e32 v3, 0
	s_waitcnt lgkmcnt(0)
	v_lshl_add_u64 v[2:3], v[2:3], 2, s[0:1]
	global_store_dword v[2:3], v1, off
	s_endpgm
	.section	.rodata,"a",@progbits
	.p2align	6, 0x0
	.amdhsa_kernel _Z20warp_exchange_kernelILj256ELj1ELj64EN6common18StripedToBlockedOpEiEvPT3_j
		.amdhsa_group_segment_fixed_size 1024
		.amdhsa_private_segment_fixed_size 0
		.amdhsa_kernarg_size 12
		.amdhsa_user_sgpr_count 2
		.amdhsa_user_sgpr_dispatch_ptr 0
		.amdhsa_user_sgpr_queue_ptr 0
		.amdhsa_user_sgpr_kernarg_segment_ptr 1
		.amdhsa_user_sgpr_dispatch_id 0
		.amdhsa_user_sgpr_kernarg_preload_length 0
		.amdhsa_user_sgpr_kernarg_preload_offset 0
		.amdhsa_user_sgpr_private_segment_size 0
		.amdhsa_uses_dynamic_stack 0
		.amdhsa_enable_private_segment 0
		.amdhsa_system_sgpr_workgroup_id_x 1
		.amdhsa_system_sgpr_workgroup_id_y 0
		.amdhsa_system_sgpr_workgroup_id_z 0
		.amdhsa_system_sgpr_workgroup_info 0
		.amdhsa_system_vgpr_workitem_id 0
		.amdhsa_next_free_vgpr 4
		.amdhsa_next_free_sgpr 4
		.amdhsa_accum_offset 4
		.amdhsa_reserve_vcc 0
		.amdhsa_float_round_mode_32 0
		.amdhsa_float_round_mode_16_64 0
		.amdhsa_float_denorm_mode_32 3
		.amdhsa_float_denorm_mode_16_64 3
		.amdhsa_dx10_clamp 1
		.amdhsa_ieee_mode 1
		.amdhsa_fp16_overflow 0
		.amdhsa_tg_split 0
		.amdhsa_exception_fp_ieee_invalid_op 0
		.amdhsa_exception_fp_denorm_src 0
		.amdhsa_exception_fp_ieee_div_zero 0
		.amdhsa_exception_fp_ieee_overflow 0
		.amdhsa_exception_fp_ieee_underflow 0
		.amdhsa_exception_fp_ieee_inexact 0
		.amdhsa_exception_int_div_zero 0
	.end_amdhsa_kernel
	.section	.text._Z20warp_exchange_kernelILj256ELj1ELj64EN6common18StripedToBlockedOpEiEvPT3_j,"axG",@progbits,_Z20warp_exchange_kernelILj256ELj1ELj64EN6common18StripedToBlockedOpEiEvPT3_j,comdat
.Lfunc_end98:
	.size	_Z20warp_exchange_kernelILj256ELj1ELj64EN6common18StripedToBlockedOpEiEvPT3_j, .Lfunc_end98-_Z20warp_exchange_kernelILj256ELj1ELj64EN6common18StripedToBlockedOpEiEvPT3_j
                                        ; -- End function
	.section	.AMDGPU.csdata,"",@progbits
; Kernel info:
; codeLenInByte = 144
; NumSgprs: 10
; NumVgprs: 4
; NumAgprs: 0
; TotalNumVgprs: 4
; ScratchSize: 0
; MemoryBound: 0
; FloatMode: 240
; IeeeMode: 1
; LDSByteSize: 1024 bytes/workgroup (compile time only)
; SGPRBlocks: 1
; VGPRBlocks: 0
; NumSGPRsForWavesPerEU: 10
; NumVGPRsForWavesPerEU: 4
; AccumOffset: 4
; Occupancy: 8
; WaveLimiterHint : 0
; COMPUTE_PGM_RSRC2:SCRATCH_EN: 0
; COMPUTE_PGM_RSRC2:USER_SGPR: 2
; COMPUTE_PGM_RSRC2:TRAP_HANDLER: 0
; COMPUTE_PGM_RSRC2:TGID_X_EN: 1
; COMPUTE_PGM_RSRC2:TGID_Y_EN: 0
; COMPUTE_PGM_RSRC2:TGID_Z_EN: 0
; COMPUTE_PGM_RSRC2:TIDIG_COMP_CNT: 0
; COMPUTE_PGM_RSRC3_GFX90A:ACCUM_OFFSET: 0
; COMPUTE_PGM_RSRC3_GFX90A:TG_SPLIT: 0
	.section	.text._Z20warp_exchange_kernelILj256ELj4ELj64EN6common18StripedToBlockedOpEiEvPT3_j,"axG",@progbits,_Z20warp_exchange_kernelILj256ELj4ELj64EN6common18StripedToBlockedOpEiEvPT3_j,comdat
	.protected	_Z20warp_exchange_kernelILj256ELj4ELj64EN6common18StripedToBlockedOpEiEvPT3_j ; -- Begin function _Z20warp_exchange_kernelILj256ELj4ELj64EN6common18StripedToBlockedOpEiEvPT3_j
	.globl	_Z20warp_exchange_kernelILj256ELj4ELj64EN6common18StripedToBlockedOpEiEvPT3_j
	.p2align	8
	.type	_Z20warp_exchange_kernelILj256ELj4ELj64EN6common18StripedToBlockedOpEiEvPT3_j,@function
_Z20warp_exchange_kernelILj256ELj4ELj64EN6common18StripedToBlockedOpEiEvPT3_j: ; @_Z20warp_exchange_kernelILj256ELj4ELj64EN6common18StripedToBlockedOpEiEvPT3_j
; %bb.0:
	s_load_dword s3, s[0:1], 0x8
	v_lshlrev_b32_e32 v2, 2, v0
	v_or_b32_e32 v5, 1, v2
	v_or_b32_e32 v6, 2, v2
	;; [unrolled: 1-line block ×3, first 2 shown]
	s_waitcnt lgkmcnt(0)
	s_cmp_eq_u32 s3, 0
	s_cbranch_scc1 .LBB99_3
; %bb.1:
	v_lshlrev_b32_e32 v0, 4, v0
	v_and_b32_e32 v1, 0xc00, v0
	v_mbcnt_lo_u32_b32 v0, -1, 0
	v_mbcnt_hi_u32_b32 v3, -1, v0
	v_lshl_or_b32 v0, v3, 2, v1
	v_lshl_add_u32 v1, v3, 4, v1
	v_mov_b32_e32 v4, v2
.LBB99_2:                               ; =>This Inner Loop Header: Depth=1
	s_waitcnt lgkmcnt(0)
	ds_write2st64_b32 v0, v4, v5 offset1:1
	ds_write2st64_b32 v0, v6, v7 offset0:2 offset1:3
	; wave barrier
	ds_read_b128 v[4:7], v1
	s_add_i32 s3, s3, -1
	s_cmp_lg_u32 s3, 0
	; wave barrier
	s_cbranch_scc1 .LBB99_2
	s_branch .LBB99_4
.LBB99_3:
	v_mov_b32_e32 v3, v5
	v_mov_b32_e32 v4, v6
	;; [unrolled: 1-line block ×3, first 2 shown]
	v_mov_b64_e32 v[6:7], v[4:5]
	v_mov_b64_e32 v[4:5], v[2:3]
.LBB99_4:
	s_load_dwordx2 s[0:1], s[0:1], 0x0
	v_lshl_or_b32 v0, s2, 10, v2
	v_mov_b32_e32 v1, 0
	s_waitcnt lgkmcnt(0)
	v_lshl_add_u64 v[0:1], v[0:1], 2, s[0:1]
	global_store_dwordx4 v[0:1], v[4:7], off
	s_endpgm
	.section	.rodata,"a",@progbits
	.p2align	6, 0x0
	.amdhsa_kernel _Z20warp_exchange_kernelILj256ELj4ELj64EN6common18StripedToBlockedOpEiEvPT3_j
		.amdhsa_group_segment_fixed_size 4096
		.amdhsa_private_segment_fixed_size 0
		.amdhsa_kernarg_size 12
		.amdhsa_user_sgpr_count 2
		.amdhsa_user_sgpr_dispatch_ptr 0
		.amdhsa_user_sgpr_queue_ptr 0
		.amdhsa_user_sgpr_kernarg_segment_ptr 1
		.amdhsa_user_sgpr_dispatch_id 0
		.amdhsa_user_sgpr_kernarg_preload_length 0
		.amdhsa_user_sgpr_kernarg_preload_offset 0
		.amdhsa_user_sgpr_private_segment_size 0
		.amdhsa_uses_dynamic_stack 0
		.amdhsa_enable_private_segment 0
		.amdhsa_system_sgpr_workgroup_id_x 1
		.amdhsa_system_sgpr_workgroup_id_y 0
		.amdhsa_system_sgpr_workgroup_id_z 0
		.amdhsa_system_sgpr_workgroup_info 0
		.amdhsa_system_vgpr_workitem_id 0
		.amdhsa_next_free_vgpr 8
		.amdhsa_next_free_sgpr 4
		.amdhsa_accum_offset 8
		.amdhsa_reserve_vcc 0
		.amdhsa_float_round_mode_32 0
		.amdhsa_float_round_mode_16_64 0
		.amdhsa_float_denorm_mode_32 3
		.amdhsa_float_denorm_mode_16_64 3
		.amdhsa_dx10_clamp 1
		.amdhsa_ieee_mode 1
		.amdhsa_fp16_overflow 0
		.amdhsa_tg_split 0
		.amdhsa_exception_fp_ieee_invalid_op 0
		.amdhsa_exception_fp_denorm_src 0
		.amdhsa_exception_fp_ieee_div_zero 0
		.amdhsa_exception_fp_ieee_overflow 0
		.amdhsa_exception_fp_ieee_underflow 0
		.amdhsa_exception_fp_ieee_inexact 0
		.amdhsa_exception_int_div_zero 0
	.end_amdhsa_kernel
	.section	.text._Z20warp_exchange_kernelILj256ELj4ELj64EN6common18StripedToBlockedOpEiEvPT3_j,"axG",@progbits,_Z20warp_exchange_kernelILj256ELj4ELj64EN6common18StripedToBlockedOpEiEvPT3_j,comdat
.Lfunc_end99:
	.size	_Z20warp_exchange_kernelILj256ELj4ELj64EN6common18StripedToBlockedOpEiEvPT3_j, .Lfunc_end99-_Z20warp_exchange_kernelILj256ELj4ELj64EN6common18StripedToBlockedOpEiEvPT3_j
                                        ; -- End function
	.section	.AMDGPU.csdata,"",@progbits
; Kernel info:
; codeLenInByte = 192
; NumSgprs: 10
; NumVgprs: 8
; NumAgprs: 0
; TotalNumVgprs: 8
; ScratchSize: 0
; MemoryBound: 0
; FloatMode: 240
; IeeeMode: 1
; LDSByteSize: 4096 bytes/workgroup (compile time only)
; SGPRBlocks: 1
; VGPRBlocks: 0
; NumSGPRsForWavesPerEU: 10
; NumVGPRsForWavesPerEU: 8
; AccumOffset: 8
; Occupancy: 8
; WaveLimiterHint : 0
; COMPUTE_PGM_RSRC2:SCRATCH_EN: 0
; COMPUTE_PGM_RSRC2:USER_SGPR: 2
; COMPUTE_PGM_RSRC2:TRAP_HANDLER: 0
; COMPUTE_PGM_RSRC2:TGID_X_EN: 1
; COMPUTE_PGM_RSRC2:TGID_Y_EN: 0
; COMPUTE_PGM_RSRC2:TGID_Z_EN: 0
; COMPUTE_PGM_RSRC2:TIDIG_COMP_CNT: 0
; COMPUTE_PGM_RSRC3_GFX90A:ACCUM_OFFSET: 1
; COMPUTE_PGM_RSRC3_GFX90A:TG_SPLIT: 0
	.section	.text._Z20warp_exchange_kernelILj256ELj16ELj64EN6common18StripedToBlockedOpEiEvPT3_j,"axG",@progbits,_Z20warp_exchange_kernelILj256ELj16ELj64EN6common18StripedToBlockedOpEiEvPT3_j,comdat
	.protected	_Z20warp_exchange_kernelILj256ELj16ELj64EN6common18StripedToBlockedOpEiEvPT3_j ; -- Begin function _Z20warp_exchange_kernelILj256ELj16ELj64EN6common18StripedToBlockedOpEiEvPT3_j
	.globl	_Z20warp_exchange_kernelILj256ELj16ELj64EN6common18StripedToBlockedOpEiEvPT3_j
	.p2align	8
	.type	_Z20warp_exchange_kernelILj256ELj16ELj64EN6common18StripedToBlockedOpEiEvPT3_j,@function
_Z20warp_exchange_kernelILj256ELj16ELj64EN6common18StripedToBlockedOpEiEvPT3_j: ; @_Z20warp_exchange_kernelILj256ELj16ELj64EN6common18StripedToBlockedOpEiEvPT3_j
; %bb.0:
	s_load_dword s3, s[0:1], 0x8
	v_lshlrev_b32_e32 v18, 4, v0
	v_or_b32_e32 v15, 1, v18
	v_or_b32_e32 v17, 3, v18
	;; [unrolled: 1-line block ×14, first 2 shown]
	s_waitcnt lgkmcnt(0)
	s_cmp_eq_u32 s3, 0
	v_or_b32_e32 v4, 14, v18
	s_cbranch_scc1 .LBB100_3
; %bb.1:
	v_lshlrev_b32_e32 v0, 6, v0
	v_and_b32_e32 v1, 0x3000, v0
	v_mbcnt_lo_u32_b32 v0, -1, 0
	v_mbcnt_hi_u32_b32 v14, -1, v0
	v_lshl_or_b32 v0, v14, 2, v1
	v_lshl_add_u32 v1, v14, 6, v1
	v_mov_b32_e32 v14, v18
.LBB100_2:                              ; =>This Inner Loop Header: Depth=1
	s_waitcnt lgkmcnt(3)
	ds_write2st64_b32 v0, v14, v15 offset1:1
	ds_write2st64_b32 v0, v16, v17 offset0:2 offset1:3
	s_waitcnt lgkmcnt(4)
	ds_write2st64_b32 v0, v10, v11 offset0:4 offset1:5
	ds_write2st64_b32 v0, v12, v13 offset0:6 offset1:7
	s_waitcnt lgkmcnt(5)
	ds_write2st64_b32 v0, v6, v7 offset0:8 offset1:9
	;; [unrolled: 3-line block ×3, first 2 shown]
	ds_write2st64_b32 v0, v4, v5 offset0:14 offset1:15
	; wave barrier
	ds_read_b128 v[14:17], v1
	ds_read_b128 v[10:13], v1 offset:16
	ds_read_b128 v[6:9], v1 offset:32
	;; [unrolled: 1-line block ×3, first 2 shown]
	s_add_i32 s3, s3, -1
	s_cmp_lg_u32 s3, 0
	; wave barrier
	s_cbranch_scc1 .LBB100_2
	s_branch .LBB100_4
.LBB100_3:
	v_mov_b32_e32 v19, v15
	v_mov_b64_e32 v[14:15], v[18:19]
.LBB100_4:
	s_load_dwordx2 s[0:1], s[0:1], 0x0
	v_lshl_or_b32 v0, s2, 12, v18
	v_mov_b32_e32 v1, 0
	s_waitcnt lgkmcnt(0)
	v_lshl_add_u64 v[0:1], v[0:1], 2, s[0:1]
	global_store_dwordx4 v[0:1], v[14:17], off
	global_store_dwordx4 v[0:1], v[10:13], off offset:16
	global_store_dwordx4 v[0:1], v[6:9], off offset:32
	;; [unrolled: 1-line block ×3, first 2 shown]
	s_endpgm
	.section	.rodata,"a",@progbits
	.p2align	6, 0x0
	.amdhsa_kernel _Z20warp_exchange_kernelILj256ELj16ELj64EN6common18StripedToBlockedOpEiEvPT3_j
		.amdhsa_group_segment_fixed_size 16384
		.amdhsa_private_segment_fixed_size 0
		.amdhsa_kernarg_size 12
		.amdhsa_user_sgpr_count 2
		.amdhsa_user_sgpr_dispatch_ptr 0
		.amdhsa_user_sgpr_queue_ptr 0
		.amdhsa_user_sgpr_kernarg_segment_ptr 1
		.amdhsa_user_sgpr_dispatch_id 0
		.amdhsa_user_sgpr_kernarg_preload_length 0
		.amdhsa_user_sgpr_kernarg_preload_offset 0
		.amdhsa_user_sgpr_private_segment_size 0
		.amdhsa_uses_dynamic_stack 0
		.amdhsa_enable_private_segment 0
		.amdhsa_system_sgpr_workgroup_id_x 1
		.amdhsa_system_sgpr_workgroup_id_y 0
		.amdhsa_system_sgpr_workgroup_id_z 0
		.amdhsa_system_sgpr_workgroup_info 0
		.amdhsa_system_vgpr_workitem_id 0
		.amdhsa_next_free_vgpr 20
		.amdhsa_next_free_sgpr 4
		.amdhsa_accum_offset 20
		.amdhsa_reserve_vcc 0
		.amdhsa_float_round_mode_32 0
		.amdhsa_float_round_mode_16_64 0
		.amdhsa_float_denorm_mode_32 3
		.amdhsa_float_denorm_mode_16_64 3
		.amdhsa_dx10_clamp 1
		.amdhsa_ieee_mode 1
		.amdhsa_fp16_overflow 0
		.amdhsa_tg_split 0
		.amdhsa_exception_fp_ieee_invalid_op 0
		.amdhsa_exception_fp_denorm_src 0
		.amdhsa_exception_fp_ieee_div_zero 0
		.amdhsa_exception_fp_ieee_overflow 0
		.amdhsa_exception_fp_ieee_underflow 0
		.amdhsa_exception_fp_ieee_inexact 0
		.amdhsa_exception_int_div_zero 0
	.end_amdhsa_kernel
	.section	.text._Z20warp_exchange_kernelILj256ELj16ELj64EN6common18StripedToBlockedOpEiEvPT3_j,"axG",@progbits,_Z20warp_exchange_kernelILj256ELj16ELj64EN6common18StripedToBlockedOpEiEvPT3_j,comdat
.Lfunc_end100:
	.size	_Z20warp_exchange_kernelILj256ELj16ELj64EN6common18StripedToBlockedOpEiEvPT3_j, .Lfunc_end100-_Z20warp_exchange_kernelILj256ELj16ELj64EN6common18StripedToBlockedOpEiEvPT3_j
                                        ; -- End function
	.section	.AMDGPU.csdata,"",@progbits
; Kernel info:
; codeLenInByte = 336
; NumSgprs: 10
; NumVgprs: 20
; NumAgprs: 0
; TotalNumVgprs: 20
; ScratchSize: 0
; MemoryBound: 0
; FloatMode: 240
; IeeeMode: 1
; LDSByteSize: 16384 bytes/workgroup (compile time only)
; SGPRBlocks: 1
; VGPRBlocks: 2
; NumSGPRsForWavesPerEU: 10
; NumVGPRsForWavesPerEU: 20
; AccumOffset: 20
; Occupancy: 4
; WaveLimiterHint : 0
; COMPUTE_PGM_RSRC2:SCRATCH_EN: 0
; COMPUTE_PGM_RSRC2:USER_SGPR: 2
; COMPUTE_PGM_RSRC2:TRAP_HANDLER: 0
; COMPUTE_PGM_RSRC2:TGID_X_EN: 1
; COMPUTE_PGM_RSRC2:TGID_Y_EN: 0
; COMPUTE_PGM_RSRC2:TGID_Z_EN: 0
; COMPUTE_PGM_RSRC2:TIDIG_COMP_CNT: 0
; COMPUTE_PGM_RSRC3_GFX90A:ACCUM_OFFSET: 4
; COMPUTE_PGM_RSRC3_GFX90A:TG_SPLIT: 0
	.section	.text._Z20warp_exchange_kernelILj256ELj64ELj64EN6common18StripedToBlockedOpEiEvPT3_j,"axG",@progbits,_Z20warp_exchange_kernelILj256ELj64ELj64EN6common18StripedToBlockedOpEiEvPT3_j,comdat
	.protected	_Z20warp_exchange_kernelILj256ELj64ELj64EN6common18StripedToBlockedOpEiEvPT3_j ; -- Begin function _Z20warp_exchange_kernelILj256ELj64ELj64EN6common18StripedToBlockedOpEiEvPT3_j
	.globl	_Z20warp_exchange_kernelILj256ELj64ELj64EN6common18StripedToBlockedOpEiEvPT3_j
	.p2align	8
	.type	_Z20warp_exchange_kernelILj256ELj64ELj64EN6common18StripedToBlockedOpEiEvPT3_j,@function
_Z20warp_exchange_kernelILj256ELj64ELj64EN6common18StripedToBlockedOpEiEvPT3_j: ; @_Z20warp_exchange_kernelILj256ELj64ELj64EN6common18StripedToBlockedOpEiEvPT3_j
; %bb.0:
	s_load_dword s3, s[0:1], 0x8
	v_lshlrev_b32_e32 v66, 6, v0
	v_or_b32_e32 v15, 1, v66
	v_or_b32_e32 v17, 3, v66
	;; [unrolled: 1-line block ×62, first 2 shown]
	s_waitcnt lgkmcnt(0)
	s_cmp_eq_u32 s3, 0
	v_or_b32_e32 v64, 62, v66
	s_cbranch_scc1 .LBB101_3
; %bb.1:
	v_lshlrev_b32_e32 v0, 8, v0
	v_and_b32_e32 v1, 0xc000, v0
	v_mbcnt_lo_u32_b32 v0, -1, 0
	v_mbcnt_hi_u32_b32 v14, -1, v0
	v_lshl_or_b32 v0, v14, 2, v1
	v_lshl_add_u32 v1, v14, 8, v1
	v_mov_b32_e32 v14, v66
.LBB101_2:                              ; =>This Inner Loop Header: Depth=1
	s_waitcnt lgkmcnt(14)
	ds_write2st64_b32 v0, v14, v15 offset1:1
	ds_write2st64_b32 v0, v16, v17 offset0:2 offset1:3
	ds_write2st64_b32 v0, v10, v11 offset0:4 offset1:5
	;; [unrolled: 1-line block ×3, first 2 shown]
	s_waitcnt lgkmcnt(14)
	ds_write2st64_b32 v0, v6, v7 offset0:8 offset1:9
	ds_write2st64_b32 v0, v8, v9 offset0:10 offset1:11
	;; [unrolled: 1-line block ×8, first 2 shown]
	s_waitcnt lgkmcnt(14)
	ds_write2st64_b32 v0, v26, v27 offset0:24 offset1:25
	ds_write2st64_b32 v0, v28, v29 offset0:26 offset1:27
	;; [unrolled: 1-line block ×16, first 2 shown]
	s_waitcnt lgkmcnt(14)
	ds_write2st64_b32 v0, v58, v59 offset0:56 offset1:57
	ds_write2st64_b32 v0, v60, v61 offset0:58 offset1:59
	;; [unrolled: 1-line block ×4, first 2 shown]
	; wave barrier
	ds_read_b128 v[14:17], v1
	ds_read_b128 v[10:13], v1 offset:16
	ds_read_b128 v[6:9], v1 offset:32
	;; [unrolled: 1-line block ×15, first 2 shown]
	s_add_i32 s3, s3, -1
	s_cmp_lg_u32 s3, 0
	; wave barrier
	s_cbranch_scc1 .LBB101_2
	s_branch .LBB101_4
.LBB101_3:
	v_mov_b32_e32 v67, v15
	v_mov_b64_e32 v[14:15], v[66:67]
.LBB101_4:
	s_load_dwordx2 s[0:1], s[0:1], 0x0
	v_lshl_or_b32 v0, s2, 14, v66
	v_mov_b32_e32 v1, 0
	s_waitcnt lgkmcnt(0)
	v_lshl_add_u64 v[0:1], v[0:1], 2, s[0:1]
	global_store_dwordx4 v[0:1], v[14:17], off
	global_store_dwordx4 v[0:1], v[10:13], off offset:16
	global_store_dwordx4 v[0:1], v[6:9], off offset:32
	global_store_dwordx4 v[0:1], v[2:5], off offset:48
	global_store_dwordx4 v[0:1], v[18:21], off offset:64
	global_store_dwordx4 v[0:1], v[22:25], off offset:80
	global_store_dwordx4 v[0:1], v[26:29], off offset:96
	global_store_dwordx4 v[0:1], v[30:33], off offset:112
	global_store_dwordx4 v[0:1], v[34:37], off offset:128
	global_store_dwordx4 v[0:1], v[38:41], off offset:144
	global_store_dwordx4 v[0:1], v[42:45], off offset:160
	global_store_dwordx4 v[0:1], v[46:49], off offset:176
	global_store_dwordx4 v[0:1], v[50:53], off offset:192
	global_store_dwordx4 v[0:1], v[54:57], off offset:208
	global_store_dwordx4 v[0:1], v[58:61], off offset:224
	global_store_dwordx4 v[0:1], v[62:65], off offset:240
	s_endpgm
	.section	.rodata,"a",@progbits
	.p2align	6, 0x0
	.amdhsa_kernel _Z20warp_exchange_kernelILj256ELj64ELj64EN6common18StripedToBlockedOpEiEvPT3_j
		.amdhsa_group_segment_fixed_size 65536
		.amdhsa_private_segment_fixed_size 0
		.amdhsa_kernarg_size 12
		.amdhsa_user_sgpr_count 2
		.amdhsa_user_sgpr_dispatch_ptr 0
		.amdhsa_user_sgpr_queue_ptr 0
		.amdhsa_user_sgpr_kernarg_segment_ptr 1
		.amdhsa_user_sgpr_dispatch_id 0
		.amdhsa_user_sgpr_kernarg_preload_length 0
		.amdhsa_user_sgpr_kernarg_preload_offset 0
		.amdhsa_user_sgpr_private_segment_size 0
		.amdhsa_uses_dynamic_stack 0
		.amdhsa_enable_private_segment 0
		.amdhsa_system_sgpr_workgroup_id_x 1
		.amdhsa_system_sgpr_workgroup_id_y 0
		.amdhsa_system_sgpr_workgroup_id_z 0
		.amdhsa_system_sgpr_workgroup_info 0
		.amdhsa_system_vgpr_workitem_id 0
		.amdhsa_next_free_vgpr 68
		.amdhsa_next_free_sgpr 4
		.amdhsa_accum_offset 68
		.amdhsa_reserve_vcc 0
		.amdhsa_float_round_mode_32 0
		.amdhsa_float_round_mode_16_64 0
		.amdhsa_float_denorm_mode_32 3
		.amdhsa_float_denorm_mode_16_64 3
		.amdhsa_dx10_clamp 1
		.amdhsa_ieee_mode 1
		.amdhsa_fp16_overflow 0
		.amdhsa_tg_split 0
		.amdhsa_exception_fp_ieee_invalid_op 0
		.amdhsa_exception_fp_denorm_src 0
		.amdhsa_exception_fp_ieee_div_zero 0
		.amdhsa_exception_fp_ieee_overflow 0
		.amdhsa_exception_fp_ieee_underflow 0
		.amdhsa_exception_fp_ieee_inexact 0
		.amdhsa_exception_int_div_zero 0
	.end_amdhsa_kernel
	.section	.text._Z20warp_exchange_kernelILj256ELj64ELj64EN6common18StripedToBlockedOpEiEvPT3_j,"axG",@progbits,_Z20warp_exchange_kernelILj256ELj64ELj64EN6common18StripedToBlockedOpEiEvPT3_j,comdat
.Lfunc_end101:
	.size	_Z20warp_exchange_kernelILj256ELj64ELj64EN6common18StripedToBlockedOpEiEvPT3_j, .Lfunc_end101-_Z20warp_exchange_kernelILj256ELj64ELj64EN6common18StripedToBlockedOpEiEvPT3_j
                                        ; -- End function
	.section	.AMDGPU.csdata,"",@progbits
; Kernel info:
; codeLenInByte = 912
; NumSgprs: 10
; NumVgprs: 68
; NumAgprs: 0
; TotalNumVgprs: 68
; ScratchSize: 0
; MemoryBound: 0
; FloatMode: 240
; IeeeMode: 1
; LDSByteSize: 65536 bytes/workgroup (compile time only)
; SGPRBlocks: 1
; VGPRBlocks: 8
; NumSGPRsForWavesPerEU: 10
; NumVGPRsForWavesPerEU: 68
; AccumOffset: 68
; Occupancy: 1
; WaveLimiterHint : 0
; COMPUTE_PGM_RSRC2:SCRATCH_EN: 0
; COMPUTE_PGM_RSRC2:USER_SGPR: 2
; COMPUTE_PGM_RSRC2:TRAP_HANDLER: 0
; COMPUTE_PGM_RSRC2:TGID_X_EN: 1
; COMPUTE_PGM_RSRC2:TGID_Y_EN: 0
; COMPUTE_PGM_RSRC2:TGID_Z_EN: 0
; COMPUTE_PGM_RSRC2:TIDIG_COMP_CNT: 0
; COMPUTE_PGM_RSRC3_GFX90A:ACCUM_OFFSET: 16
; COMPUTE_PGM_RSRC3_GFX90A:TG_SPLIT: 0
	.section	.text._Z20warp_exchange_kernelILj256ELj1ELj64EN6common25BlockedToStripedShuffleOpEiEvPT3_j,"axG",@progbits,_Z20warp_exchange_kernelILj256ELj1ELj64EN6common25BlockedToStripedShuffleOpEiEvPT3_j,comdat
	.protected	_Z20warp_exchange_kernelILj256ELj1ELj64EN6common25BlockedToStripedShuffleOpEiEvPT3_j ; -- Begin function _Z20warp_exchange_kernelILj256ELj1ELj64EN6common25BlockedToStripedShuffleOpEiEvPT3_j
	.globl	_Z20warp_exchange_kernelILj256ELj1ELj64EN6common25BlockedToStripedShuffleOpEiEvPT3_j
	.p2align	8
	.type	_Z20warp_exchange_kernelILj256ELj1ELj64EN6common25BlockedToStripedShuffleOpEiEvPT3_j,@function
_Z20warp_exchange_kernelILj256ELj1ELj64EN6common25BlockedToStripedShuffleOpEiEvPT3_j: ; @_Z20warp_exchange_kernelILj256ELj1ELj64EN6common25BlockedToStripedShuffleOpEiEvPT3_j
; %bb.0:
	s_load_dword s3, s[0:1], 0x8
	s_waitcnt lgkmcnt(0)
	s_cmp_eq_u32 s3, 0
	s_cbranch_scc1 .LBB102_3
; %bb.1:
	v_mbcnt_lo_u32_b32 v1, -1, 0
	v_mbcnt_hi_u32_b32 v1, -1, v1
	v_lshlrev_b32_e32 v2, 2, v1
	v_mov_b32_e32 v1, v0
.LBB102_2:                              ; =>This Inner Loop Header: Depth=1
	s_waitcnt lgkmcnt(0)
	ds_bpermute_b32 v1, v2, v1
	s_add_i32 s3, s3, -1
	s_cmp_lg_u32 s3, 0
	; wave barrier
	s_cbranch_scc1 .LBB102_2
	s_branch .LBB102_4
.LBB102_3:
	v_mov_b32_e32 v1, v0
.LBB102_4:
	s_load_dwordx2 s[0:1], s[0:1], 0x0
	v_lshl_or_b32 v2, s2, 8, v0
	v_mov_b32_e32 v3, 0
	s_waitcnt lgkmcnt(0)
	v_lshl_add_u64 v[2:3], v[2:3], 2, s[0:1]
	global_store_dword v[2:3], v1, off
	s_endpgm
	.section	.rodata,"a",@progbits
	.p2align	6, 0x0
	.amdhsa_kernel _Z20warp_exchange_kernelILj256ELj1ELj64EN6common25BlockedToStripedShuffleOpEiEvPT3_j
		.amdhsa_group_segment_fixed_size 0
		.amdhsa_private_segment_fixed_size 0
		.amdhsa_kernarg_size 12
		.amdhsa_user_sgpr_count 2
		.amdhsa_user_sgpr_dispatch_ptr 0
		.amdhsa_user_sgpr_queue_ptr 0
		.amdhsa_user_sgpr_kernarg_segment_ptr 1
		.amdhsa_user_sgpr_dispatch_id 0
		.amdhsa_user_sgpr_kernarg_preload_length 0
		.amdhsa_user_sgpr_kernarg_preload_offset 0
		.amdhsa_user_sgpr_private_segment_size 0
		.amdhsa_uses_dynamic_stack 0
		.amdhsa_enable_private_segment 0
		.amdhsa_system_sgpr_workgroup_id_x 1
		.amdhsa_system_sgpr_workgroup_id_y 0
		.amdhsa_system_sgpr_workgroup_id_z 0
		.amdhsa_system_sgpr_workgroup_info 0
		.amdhsa_system_vgpr_workitem_id 0
		.amdhsa_next_free_vgpr 4
		.amdhsa_next_free_sgpr 4
		.amdhsa_accum_offset 4
		.amdhsa_reserve_vcc 0
		.amdhsa_float_round_mode_32 0
		.amdhsa_float_round_mode_16_64 0
		.amdhsa_float_denorm_mode_32 3
		.amdhsa_float_denorm_mode_16_64 3
		.amdhsa_dx10_clamp 1
		.amdhsa_ieee_mode 1
		.amdhsa_fp16_overflow 0
		.amdhsa_tg_split 0
		.amdhsa_exception_fp_ieee_invalid_op 0
		.amdhsa_exception_fp_denorm_src 0
		.amdhsa_exception_fp_ieee_div_zero 0
		.amdhsa_exception_fp_ieee_overflow 0
		.amdhsa_exception_fp_ieee_underflow 0
		.amdhsa_exception_fp_ieee_inexact 0
		.amdhsa_exception_int_div_zero 0
	.end_amdhsa_kernel
	.section	.text._Z20warp_exchange_kernelILj256ELj1ELj64EN6common25BlockedToStripedShuffleOpEiEvPT3_j,"axG",@progbits,_Z20warp_exchange_kernelILj256ELj1ELj64EN6common25BlockedToStripedShuffleOpEiEvPT3_j,comdat
.Lfunc_end102:
	.size	_Z20warp_exchange_kernelILj256ELj1ELj64EN6common25BlockedToStripedShuffleOpEiEvPT3_j, .Lfunc_end102-_Z20warp_exchange_kernelILj256ELj1ELj64EN6common25BlockedToStripedShuffleOpEiEvPT3_j
                                        ; -- End function
	.section	.AMDGPU.csdata,"",@progbits
; Kernel info:
; codeLenInByte = 120
; NumSgprs: 10
; NumVgprs: 4
; NumAgprs: 0
; TotalNumVgprs: 4
; ScratchSize: 0
; MemoryBound: 0
; FloatMode: 240
; IeeeMode: 1
; LDSByteSize: 0 bytes/workgroup (compile time only)
; SGPRBlocks: 1
; VGPRBlocks: 0
; NumSGPRsForWavesPerEU: 10
; NumVGPRsForWavesPerEU: 4
; AccumOffset: 4
; Occupancy: 8
; WaveLimiterHint : 0
; COMPUTE_PGM_RSRC2:SCRATCH_EN: 0
; COMPUTE_PGM_RSRC2:USER_SGPR: 2
; COMPUTE_PGM_RSRC2:TRAP_HANDLER: 0
; COMPUTE_PGM_RSRC2:TGID_X_EN: 1
; COMPUTE_PGM_RSRC2:TGID_Y_EN: 0
; COMPUTE_PGM_RSRC2:TGID_Z_EN: 0
; COMPUTE_PGM_RSRC2:TIDIG_COMP_CNT: 0
; COMPUTE_PGM_RSRC3_GFX90A:ACCUM_OFFSET: 0
; COMPUTE_PGM_RSRC3_GFX90A:TG_SPLIT: 0
	.section	.text._Z20warp_exchange_kernelILj256ELj4ELj64EN6common25BlockedToStripedShuffleOpEiEvPT3_j,"axG",@progbits,_Z20warp_exchange_kernelILj256ELj4ELj64EN6common25BlockedToStripedShuffleOpEiEvPT3_j,comdat
	.protected	_Z20warp_exchange_kernelILj256ELj4ELj64EN6common25BlockedToStripedShuffleOpEiEvPT3_j ; -- Begin function _Z20warp_exchange_kernelILj256ELj4ELj64EN6common25BlockedToStripedShuffleOpEiEvPT3_j
	.globl	_Z20warp_exchange_kernelILj256ELj4ELj64EN6common25BlockedToStripedShuffleOpEiEvPT3_j
	.p2align	8
	.type	_Z20warp_exchange_kernelILj256ELj4ELj64EN6common25BlockedToStripedShuffleOpEiEvPT3_j,@function
_Z20warp_exchange_kernelILj256ELj4ELj64EN6common25BlockedToStripedShuffleOpEiEvPT3_j: ; @_Z20warp_exchange_kernelILj256ELj4ELj64EN6common25BlockedToStripedShuffleOpEiEvPT3_j
; %bb.0:
	s_load_dword s3, s[0:1], 0x8
	v_lshlrev_b32_e32 v0, 2, v0
	v_or_b32_e32 v1, 1, v0
	v_or_b32_e32 v2, 2, v0
	;; [unrolled: 1-line block ×3, first 2 shown]
	s_waitcnt lgkmcnt(0)
	s_cmp_eq_u32 s3, 0
	s_cbranch_scc1 .LBB103_4
; %bb.1:
	v_mbcnt_lo_u32_b32 v4, -1, 0
	v_mbcnt_hi_u32_b32 v4, -1, v4
	v_lshrrev_b32_e32 v8, 2, v4
	v_and_b32_e32 v9, 64, v4
	v_and_b32_e32 v4, 3, v4
	v_cmp_eq_u32_e32 vcc, 3, v4
	v_cmp_eq_u32_e64 s[6:7], 2, v4
	v_cmp_eq_u32_e64 s[4:5], 1, v4
	v_or_b32_e32 v4, v8, v9
	v_lshlrev_b32_e32 v5, 2, v4
	v_add_u32_e32 v4, 48, v8
	v_and_or_b32 v4, v4, 63, v9
	v_add_u32_e32 v6, 64, v5
	v_or_b32_e32 v7, 0x80, v5
	v_lshlrev_b32_e32 v8, 2, v4
	v_mov_b32_e32 v4, v0
.LBB103_2:                              ; =>This Inner Loop Header: Depth=1
	v_mov_b32_e32 v9, v1
	v_mov_b32_e32 v10, v4
	ds_bpermute_b32 v1, v5, v4
	ds_bpermute_b32 v4, v5, v9
	;; [unrolled: 1-line block ×6, first 2 shown]
	s_waitcnt lgkmcnt(4)
	v_cndmask_b32_e64 v1, v1, v4, s[4:5]
	s_waitcnt lgkmcnt(3)
	v_cndmask_b32_e64 v1, v1, v11, s[6:7]
	ds_bpermute_b32 v4, v5, v3
	ds_bpermute_b32 v11, v6, v10
	ds_bpermute_b32 v15, v7, v10
	ds_bpermute_b32 v16, v7, v9
	ds_bpermute_b32 v10, v8, v10
	s_waitcnt lgkmcnt(4)
	v_cndmask_b32_e32 v4, v1, v4, vcc
	s_waitcnt lgkmcnt(3)
	v_cndmask_b32_e64 v1, v11, v12, s[4:5]
	v_cndmask_b32_e64 v1, v1, v13, s[6:7]
	ds_bpermute_b32 v9, v8, v9
	v_cndmask_b32_e32 v1, v1, v14, vcc
	ds_bpermute_b32 v12, v7, v2
	ds_bpermute_b32 v14, v8, v2
	;; [unrolled: 1-line block ×4, first 2 shown]
	s_waitcnt lgkmcnt(6)
	v_cndmask_b32_e64 v11, v15, v16, s[4:5]
	s_waitcnt lgkmcnt(4)
	v_cndmask_b32_e64 v9, v10, v9, s[4:5]
	;; [unrolled: 2-line block ×4, first 2 shown]
	s_add_i32 s3, s3, -1
	s_waitcnt lgkmcnt(1)
	v_cndmask_b32_e32 v2, v2, v13, vcc
	s_waitcnt lgkmcnt(0)
	v_cndmask_b32_e32 v3, v9, v3, vcc
	s_cmp_lg_u32 s3, 0
	; wave barrier
	s_cbranch_scc1 .LBB103_2
; %bb.3:
	v_mov_b32_e32 v5, v1
	v_mov_b32_e32 v6, v2
	;; [unrolled: 1-line block ×3, first 2 shown]
	s_branch .LBB103_5
.LBB103_4:
	v_mov_b64_e32 v[6:7], v[2:3]
	v_mov_b64_e32 v[4:5], v[0:1]
.LBB103_5:
	s_load_dwordx2 s[0:1], s[0:1], 0x0
	v_lshl_or_b32 v0, s2, 10, v0
	v_mov_b32_e32 v1, 0
	s_waitcnt lgkmcnt(0)
	v_lshl_add_u64 v[0:1], v[0:1], 2, s[0:1]
	global_store_dwordx4 v[0:1], v[4:7], off
	s_endpgm
	.section	.rodata,"a",@progbits
	.p2align	6, 0x0
	.amdhsa_kernel _Z20warp_exchange_kernelILj256ELj4ELj64EN6common25BlockedToStripedShuffleOpEiEvPT3_j
		.amdhsa_group_segment_fixed_size 0
		.amdhsa_private_segment_fixed_size 0
		.amdhsa_kernarg_size 12
		.amdhsa_user_sgpr_count 2
		.amdhsa_user_sgpr_dispatch_ptr 0
		.amdhsa_user_sgpr_queue_ptr 0
		.amdhsa_user_sgpr_kernarg_segment_ptr 1
		.amdhsa_user_sgpr_dispatch_id 0
		.amdhsa_user_sgpr_kernarg_preload_length 0
		.amdhsa_user_sgpr_kernarg_preload_offset 0
		.amdhsa_user_sgpr_private_segment_size 0
		.amdhsa_uses_dynamic_stack 0
		.amdhsa_enable_private_segment 0
		.amdhsa_system_sgpr_workgroup_id_x 1
		.amdhsa_system_sgpr_workgroup_id_y 0
		.amdhsa_system_sgpr_workgroup_id_z 0
		.amdhsa_system_sgpr_workgroup_info 0
		.amdhsa_system_vgpr_workitem_id 0
		.amdhsa_next_free_vgpr 17
		.amdhsa_next_free_sgpr 8
		.amdhsa_accum_offset 20
		.amdhsa_reserve_vcc 1
		.amdhsa_float_round_mode_32 0
		.amdhsa_float_round_mode_16_64 0
		.amdhsa_float_denorm_mode_32 3
		.amdhsa_float_denorm_mode_16_64 3
		.amdhsa_dx10_clamp 1
		.amdhsa_ieee_mode 1
		.amdhsa_fp16_overflow 0
		.amdhsa_tg_split 0
		.amdhsa_exception_fp_ieee_invalid_op 0
		.amdhsa_exception_fp_denorm_src 0
		.amdhsa_exception_fp_ieee_div_zero 0
		.amdhsa_exception_fp_ieee_overflow 0
		.amdhsa_exception_fp_ieee_underflow 0
		.amdhsa_exception_fp_ieee_inexact 0
		.amdhsa_exception_int_div_zero 0
	.end_amdhsa_kernel
	.section	.text._Z20warp_exchange_kernelILj256ELj4ELj64EN6common25BlockedToStripedShuffleOpEiEvPT3_j,"axG",@progbits,_Z20warp_exchange_kernelILj256ELj4ELj64EN6common25BlockedToStripedShuffleOpEiEvPT3_j,comdat
.Lfunc_end103:
	.size	_Z20warp_exchange_kernelILj256ELj4ELj64EN6common25BlockedToStripedShuffleOpEiEvPT3_j, .Lfunc_end103-_Z20warp_exchange_kernelILj256ELj4ELj64EN6common25BlockedToStripedShuffleOpEiEvPT3_j
                                        ; -- End function
	.section	.AMDGPU.csdata,"",@progbits
; Kernel info:
; codeLenInByte = 460
; NumSgprs: 14
; NumVgprs: 17
; NumAgprs: 0
; TotalNumVgprs: 17
; ScratchSize: 0
; MemoryBound: 0
; FloatMode: 240
; IeeeMode: 1
; LDSByteSize: 0 bytes/workgroup (compile time only)
; SGPRBlocks: 1
; VGPRBlocks: 2
; NumSGPRsForWavesPerEU: 14
; NumVGPRsForWavesPerEU: 17
; AccumOffset: 20
; Occupancy: 8
; WaveLimiterHint : 0
; COMPUTE_PGM_RSRC2:SCRATCH_EN: 0
; COMPUTE_PGM_RSRC2:USER_SGPR: 2
; COMPUTE_PGM_RSRC2:TRAP_HANDLER: 0
; COMPUTE_PGM_RSRC2:TGID_X_EN: 1
; COMPUTE_PGM_RSRC2:TGID_Y_EN: 0
; COMPUTE_PGM_RSRC2:TGID_Z_EN: 0
; COMPUTE_PGM_RSRC2:TIDIG_COMP_CNT: 0
; COMPUTE_PGM_RSRC3_GFX90A:ACCUM_OFFSET: 4
; COMPUTE_PGM_RSRC3_GFX90A:TG_SPLIT: 0
	.section	.text._Z20warp_exchange_kernelILj256ELj16ELj64EN6common25BlockedToStripedShuffleOpEiEvPT3_j,"axG",@progbits,_Z20warp_exchange_kernelILj256ELj16ELj64EN6common25BlockedToStripedShuffleOpEiEvPT3_j,comdat
	.protected	_Z20warp_exchange_kernelILj256ELj16ELj64EN6common25BlockedToStripedShuffleOpEiEvPT3_j ; -- Begin function _Z20warp_exchange_kernelILj256ELj16ELj64EN6common25BlockedToStripedShuffleOpEiEvPT3_j
	.globl	_Z20warp_exchange_kernelILj256ELj16ELj64EN6common25BlockedToStripedShuffleOpEiEvPT3_j
	.p2align	8
	.type	_Z20warp_exchange_kernelILj256ELj16ELj64EN6common25BlockedToStripedShuffleOpEiEvPT3_j,@function
_Z20warp_exchange_kernelILj256ELj16ELj64EN6common25BlockedToStripedShuffleOpEiEvPT3_j: ; @_Z20warp_exchange_kernelILj256ELj16ELj64EN6common25BlockedToStripedShuffleOpEiEvPT3_j
; %bb.0:
	s_load_dword s3, s[0:1], 0x8
	v_lshlrev_b32_e32 v16, 4, v0
	v_or_b32_e32 v17, 1, v16
	v_or_b32_e32 v18, 2, v16
	;; [unrolled: 1-line block ×14, first 2 shown]
	s_waitcnt lgkmcnt(0)
	s_cmp_lg_u32 s3, 0
	v_or_b32_e32 v31, 15, v16
	s_cbranch_scc0 .LBB104_6
; %bb.1:
	v_mbcnt_lo_u32_b32 v0, -1, 0
	v_mbcnt_hi_u32_b32 v0, -1, v0
	v_and_b32_e32 v1, 3, v0
	v_add_u32_e32 v3, -1, v0
	v_xor_b32_e32 v35, 2, v1
	v_and_b32_e32 v34, 3, v3
	v_add_u32_e32 v3, 3, v35
	v_and_b32_e32 v36, 3, v3
	v_or_b32_e32 v37, 4, v3
	v_or_b32_e32 v38, 12, v3
	v_and_b32_e32 v3, 64, v0
	v_add_u32_e32 v4, 60, v0
	v_and_or_b32 v4, v4, 63, v3
	v_lshlrev_b32_e32 v39, 2, v4
	v_add_u32_e32 v4, 56, v0
	v_and_or_b32 v4, v4, 63, v3
	v_lshlrev_b32_e32 v40, 2, v4
	;; [unrolled: 3-line block ×7, first 2 shown]
	v_lshlrev_b32_e32 v4, 2, v0
	v_xor_b32_e32 v46, 0x80, v4
	v_add_u32_e32 v4, 28, v0
	v_and_or_b32 v4, v4, 63, v3
	v_lshlrev_b32_e32 v47, 2, v4
	v_add_u32_e32 v4, 24, v0
	v_and_or_b32 v4, v4, 63, v3
	v_lshlrev_b32_e32 v48, 2, v4
	;; [unrolled: 3-line block ×7, first 2 shown]
	v_lshrrev_b32_e32 v3, 2, v0
	v_bfe_u32 v54, v0, 2, 4
	v_add_u32_e32 v0, -1, v3
	v_and_b32_e32 v55, 15, v0
	v_add_u32_e32 v0, 14, v3
	v_and_b32_e32 v56, 15, v0
	v_add_u32_e32 v0, 13, v3
	;; [unrolled: 2-line block ×6, first 2 shown]
	v_xor_b32_e32 v62, 8, v54
	v_and_b32_e32 v61, 15, v0
	v_add_u32_e32 v0, -1, v62
	v_and_b32_e32 v63, 15, v0
	v_add_u32_e32 v0, 14, v62
	v_and_b32_e32 v64, 15, v0
	v_add_u32_e32 v0, 13, v62
	;; [unrolled: 2-line block ×5, first 2 shown]
	v_or_b32_e32 v2, 4, v1
	v_or_b32_e32 v32, 8, v1
	v_and_b32_e32 v68, 15, v0
	v_add_u32_e32 v0, 9, v62
	v_or_b32_e32 v33, 12, v1
	v_and_b32_e32 v69, 15, v0
	v_cmp_eq_u32_e32 vcc, 1, v1
	v_cmp_eq_u32_e64 s[78:79], 2, v1
	v_cmp_eq_u32_e64 s[4:5], 3, v1
	;; [unrolled: 1-line block ×36, first 2 shown]
	v_mov_b32_e32 v3, v31
	v_mov_b32_e32 v2, v30
	;; [unrolled: 1-line block ×16, first 2 shown]
	v_or_b32_e32 v70, 4, v34
	v_or_b32_e32 v71, 8, v34
	;; [unrolled: 1-line block ×7, first 2 shown]
.LBB104_2:                              ; =>This Inner Loop Header: Depth=1
	s_waitcnt lgkmcnt(4)
	v_mov_b32_dpp v9, v9 quad_perm:[3,0,1,2] row_mask:0xf bank_mask:0xf
	v_cmp_eq_u32_e64 s[76:77], 1, v33
	v_cndmask_b32_e32 v77, v8, v9, vcc
	v_cndmask_b32_e64 v78, v8, v9, s[30:31]
	v_cndmask_b32_e64 v79, v8, v9, s[76:77]
	v_cmp_eq_u32_e64 s[76:77], 1, v34
	v_cndmask_b32_e64 v84, v8, v9, s[62:63]
	v_mov_b32_dpp v5, v5 quad_perm:[3,0,1,2] row_mask:0xf bank_mask:0xf
	v_cndmask_b32_e64 v80, v8, v9, s[76:77]
	v_cmp_eq_u32_e64 s[76:77], 1, v70
	v_mov_b32_dpp v6, v6 quad_perm:[2,3,0,1] row_mask:0xf bank_mask:0xf
	s_add_i32 s3, s3, -1
	v_cndmask_b32_e64 v81, v8, v9, s[76:77]
	v_cmp_eq_u32_e64 s[76:77], 1, v71
	s_cmp_lg_u32 s3, 0
	s_nop 0
	v_cndmask_b32_e64 v82, v8, v9, s[76:77]
	v_cmp_eq_u32_e64 s[76:77], 1, v72
	; wave barrier
	s_nop 1
	v_cndmask_b32_e64 v83, v8, v9, s[76:77]
	v_cmp_eq_u32_e64 s[76:77], 1, v35
	s_nop 1
	v_cndmask_b32_e64 v85, v8, v9, s[76:77]
	v_cmp_eq_u32_e64 s[76:77], 1, v73
	s_nop 1
	v_cndmask_b32_e64 v86, v8, v9, s[76:77]
	v_cmp_eq_u32_e64 s[76:77], 1, v74
	s_nop 1
	v_cndmask_b32_e64 v87, v8, v9, s[76:77]
	v_cmp_eq_u32_e64 s[76:77], 1, v75
	s_nop 1
	v_cndmask_b32_e64 v88, v8, v9, s[76:77]
	v_cmp_eq_u32_e64 s[76:77], 1, v36
	s_nop 1
	v_cndmask_b32_e64 v89, v8, v9, s[76:77]
	v_cmp_eq_u32_e64 s[76:77], 1, v37
	s_nop 1
	v_cndmask_b32_e64 v90, v8, v9, s[76:77]
	v_cmp_eq_u32_e64 s[76:77], 1, v76
	s_nop 1
	v_cndmask_b32_e64 v91, v8, v9, s[76:77]
	v_cmp_eq_u32_e64 s[76:77], 1, v38
	s_nop 1
	v_cndmask_b32_e64 v8, v8, v9, s[76:77]
	v_mov_b32_dpp v9, v10 quad_perm:[2,3,0,1] row_mask:0xf bank_mask:0xf
	v_cmp_eq_u32_e64 s[76:77], 2, v33
	v_mov_b32_dpp v10, v11 quad_perm:[1,2,3,0] row_mask:0xf bank_mask:0xf
	v_cndmask_b32_e64 v11, v77, v9, s[78:79]
	v_cndmask_b32_e64 v79, v79, v9, s[76:77]
	v_cmp_eq_u32_e64 s[76:77], 2, v34
	v_cndmask_b32_e64 v77, v78, v9, s[34:35]
	v_cndmask_b32_e64 v78, v84, v9, s[64:65]
	;; [unrolled: 1-line block ×3, first 2 shown]
	v_cmp_eq_u32_e64 s[76:77], 2, v70
	s_nop 1
	v_cndmask_b32_e64 v81, v81, v9, s[76:77]
	v_cmp_eq_u32_e64 s[76:77], 2, v71
	s_nop 1
	v_cndmask_b32_e64 v82, v82, v9, s[76:77]
	;; [unrolled: 3-line block ×11, first 2 shown]
	v_cmp_eq_u32_e64 s[76:77], 3, v33
	v_cndmask_b32_e64 v9, v11, v10, s[4:5]
	v_cndmask_b32_e64 v11, v77, v10, s[36:37]
	v_cndmask_b32_e64 v77, v78, v10, s[66:67]
	v_cndmask_b32_e64 v78, v79, v10, s[76:77]
	v_cmp_eq_u32_e64 s[76:77], 3, v34
	v_cndmask_b32_e64 v9, v9, v12, s[6:7]
	s_nop 0
	v_cndmask_b32_e64 v79, v80, v10, s[76:77]
	v_cmp_eq_u32_e64 s[76:77], 3, v70
	s_nop 1
	v_cndmask_b32_e64 v80, v81, v10, s[76:77]
	v_cmp_eq_u32_e64 s[76:77], 3, v71
	;; [unrolled: 3-line block ×12, first 2 shown]
	v_cndmask_b32_e64 v10, v11, v12, s[38:39]
	v_cndmask_b32_e64 v11, v77, v12, s[68:69]
	;; [unrolled: 1-line block ×3, first 2 shown]
	v_cmp_eq_u32_e64 s[76:77], 4, v34
	s_nop 1
	v_cndmask_b32_e64 v78, v79, v12, s[76:77]
	v_cmp_eq_u32_e64 s[76:77], 4, v70
	s_nop 1
	v_cndmask_b32_e64 v79, v80, v12, s[76:77]
	;; [unrolled: 3-line block ×11, first 2 shown]
	v_cmp_eq_u32_e64 s[76:77], 4, v38
	s_waitcnt lgkmcnt(0)
	v_mov_b32_dpp v89, v3 quad_perm:[1,2,3,0] row_mask:0xf bank_mask:0xf
	v_cndmask_b32_e64 v8, v8, v12, s[76:77]
	v_mov_b32_dpp v12, v13 quad_perm:[3,0,1,2] row_mask:0xf bank_mask:0xf
	v_cmp_eq_u32_e64 s[76:77], 5, v33
	v_mov_b32_dpp v13, v14 quad_perm:[2,3,0,1] row_mask:0xf bank_mask:0xf
	v_mov_b32_dpp v14, v15 quad_perm:[1,2,3,0] row_mask:0xf bank_mask:0xf
	v_cndmask_b32_e64 v15, v77, v12, s[76:77]
	v_cmp_eq_u32_e64 s[76:77], 5, v34
	v_cndmask_b32_e64 v9, v9, v12, s[8:9]
	v_cndmask_b32_e64 v10, v10, v12, s[40:41]
	v_cndmask_b32_e64 v77, v78, v12, s[76:77]
	v_cmp_eq_u32_e64 s[76:77], 5, v70
	v_cndmask_b32_e64 v11, v11, v12, s[70:71]
	v_cndmask_b32_e64 v9, v9, v13, s[10:11]
	;; [unrolled: 4-line block ×5, first 2 shown]
	v_cndmask_b32_e64 v81, v82, v12, s[76:77]
	v_cmp_eq_u32_e64 s[76:77], 5, v73
	v_cndmask_b32_e64 v10, v10, v4, s[46:47]
	s_nop 0
	v_cndmask_b32_e64 v82, v83, v12, s[76:77]
	v_cmp_eq_u32_e64 s[76:77], 5, v74
	s_nop 1
	v_cndmask_b32_e64 v83, v84, v12, s[76:77]
	v_cmp_eq_u32_e64 s[76:77], 5, v75
	;; [unrolled: 3-line block ×32, first 2 shown]
	v_mov_b32_dpp v86, v1 quad_perm:[3,0,1,2] row_mask:0xf bank_mask:0xf
	v_cndmask_b32_e64 v1, v9, v5, s[16:17]
	v_cndmask_b32_e64 v8, v8, v14, s[76:77]
	v_cmp_eq_u32_e64 s[76:77], 8, v32
	v_cndmask_b32_e64 v1, v1, v6, s[18:19]
	s_nop 0
	v_cndmask_b32_e64 v11, v11, v4, s[76:77]
	v_cmp_eq_u32_e64 s[76:77], 8, v33
	s_nop 1
	v_cndmask_b32_e64 v12, v12, v4, s[76:77]
	v_cmp_eq_u32_e64 s[76:77], 8, v34
	;; [unrolled: 3-line block ×13, first 2 shown]
	v_mov_b32_dpp v85, v7 quad_perm:[1,2,3,0] row_mask:0xf bank_mask:0xf
	v_cndmask_b32_e64 v7, v10, v5, s[48:49]
	v_cndmask_b32_e64 v4, v8, v4, s[76:77]
	v_cmp_eq_u32_e64 s[76:77], 9, v32
	v_cndmask_b32_e64 v1, v1, v85, s[20:21]
	v_cndmask_b32_e64 v1, v1, v0, s[22:23]
	;; [unrolled: 1-line block ×3, first 2 shown]
	v_cmp_eq_u32_e64 s[76:77], 9, v33
	v_cndmask_b32_e64 v1, v1, v86, s[24:25]
	s_nop 0
	v_cndmask_b32_e64 v9, v12, v5, s[76:77]
	v_cmp_eq_u32_e64 s[76:77], 9, v34
	s_nop 1
	v_cndmask_b32_e64 v10, v13, v5, s[76:77]
	v_cmp_eq_u32_e64 s[76:77], 9, v70
	;; [unrolled: 3-line block ×10, first 2 shown]
	v_mov_b32_dpp v82, v2 quad_perm:[2,3,0,1] row_mask:0xf bank_mask:0xf
	v_cndmask_b32_e64 v2, v7, v6, s[50:51]
	v_cndmask_b32_e64 v80, v83, v5, s[76:77]
	v_cmp_eq_u32_e64 s[76:77], 9, v76
	v_cndmask_b32_e64 v1, v1, v82, s[26:27]
	s_nop 0
	v_cndmask_b32_e64 v81, v84, v5, s[76:77]
	v_cmp_eq_u32_e64 s[76:77], 9, v38
	s_nop 1
	v_cndmask_b32_e64 v4, v4, v5, s[76:77]
	v_cmp_eq_u32_e64 s[76:77], 10, v32
	;; [unrolled: 3-line block ×8, first 2 shown]
	v_cndmask_b32_e64 v13, v1, v89, s[28:29]
	v_cndmask_b32_e64 v1, v2, v85, s[52:53]
	v_cndmask_b32_e64 v87, v14, v6, s[76:77]
	v_cmp_eq_u32_e64 s[76:77], 10, v73
	v_cndmask_b32_e64 v1, v1, v0, s[54:55]
	v_cndmask_b32_e64 v1, v1, v86, s[56:57]
	v_cndmask_b32_e64 v15, v15, v6, s[76:77]
	v_cmp_eq_u32_e64 s[76:77], 10, v74
	;; [unrolled: 4-line block ×3, first 2 shown]
	s_nop 1
	v_cndmask_b32_e64 v78, v78, v6, s[76:77]
	v_cmp_eq_u32_e64 s[76:77], 10, v36
	s_nop 1
	v_cndmask_b32_e64 v79, v79, v6, s[76:77]
	v_cmp_eq_u32_e64 s[76:77], 10, v37
	;; [unrolled: 3-line block ×10, first 2 shown]
	ds_bpermute_b32 v14, v40, v14
	s_nop 0
	v_cndmask_b32_e64 v1, v7, v85, s[76:77]
	v_cmp_eq_u32_e64 s[76:77], 12, v33
	s_nop 1
	v_cndmask_b32_e64 v1, v1, v0, s[76:77]
	v_cmp_eq_u32_e64 s[76:77], 13, v33
	;; [unrolled: 3-line block ×5, first 2 shown]
	ds_bpermute_b32 v12, v41, v12
	s_nop 0
	v_cndmask_b32_e64 v1, v8, v85, s[76:77]
	v_cmp_eq_u32_e64 s[76:77], 12, v34
	s_nop 1
	v_cndmask_b32_e64 v1, v1, v0, s[76:77]
	v_cmp_eq_u32_e64 s[76:77], 13, v34
	;; [unrolled: 3-line block ×5, first 2 shown]
	s_nop 0
	v_mov_b32_dpp v11, v11 quad_perm:[1,2,3,0] row_mask:0xf bank_mask:0xf
	v_cndmask_b32_e64 v1, v9, v85, s[76:77]
	v_cmp_eq_u32_e64 s[76:77], 12, v70
	ds_bpermute_b32 v11, v42, v11
	s_nop 0
	v_cndmask_b32_e64 v1, v1, v0, s[76:77]
	v_cmp_eq_u32_e64 s[76:77], 13, v70
	s_nop 1
	v_cndmask_b32_e64 v1, v1, v86, s[76:77]
	v_cmp_eq_u32_e64 s[76:77], 14, v70
	s_nop 1
	v_cndmask_b32_e64 v1, v1, v82, s[76:77]
	v_cmp_eq_u32_e64 s[76:77], 15, v70
	s_nop 1
	v_cndmask_b32_e64 v10, v1, v89, s[76:77]
	v_cmp_eq_u32_e64 s[76:77], 11, v71
	s_nop 0
	v_mov_b32_dpp v10, v10 quad_perm:[1,2,3,0] row_mask:0xf bank_mask:0xf
	v_cndmask_b32_e64 v1, v83, v85, s[76:77]
	v_cmp_eq_u32_e64 s[76:77], 12, v71
	ds_bpermute_b32 v10, v43, v10
	s_nop 0
	v_cndmask_b32_e64 v1, v1, v0, s[76:77]
	v_cmp_eq_u32_e64 s[76:77], 13, v71
	s_nop 1
	v_cndmask_b32_e64 v1, v1, v86, s[76:77]
	v_cmp_eq_u32_e64 s[76:77], 14, v71
	s_nop 1
	v_cndmask_b32_e64 v1, v1, v82, s[76:77]
	v_cmp_eq_u32_e64 s[76:77], 15, v71
	s_nop 1
	v_cndmask_b32_e64 v9, v1, v89, s[76:77]
	v_cmp_eq_u32_e64 s[76:77], 11, v72
	;; [unrolled: 17-line block ×10, first 2 shown]
	s_nop 0
	v_mov_b32_dpp v8, v8 quad_perm:[3,0,1,2] row_mask:0xf bank_mask:0xf
	v_cndmask_b32_e64 v15, v88, v85, s[76:77]
	v_cmp_eq_u32_e64 s[76:77], 12, v38
	s_nop 1
	v_cndmask_b32_e64 v0, v15, v0, s[76:77]
	ds_bpermute_b32 v15, v39, v90
	v_cmp_eq_u32_e64 s[76:77], 13, v38
	s_nop 1
	v_cndmask_b32_e64 v0, v0, v86, s[76:77]
	v_cmp_eq_u32_e64 s[76:77], 14, v38
	s_nop 1
	v_cndmask_b32_e64 v0, v0, v82, s[76:77]
	;; [unrolled: 3-line block ×3, first 2 shown]
	v_cmp_eq_u32_e64 s[76:77], 1, v54
	s_nop 0
	v_mov_b32_dpp v0, v0 quad_perm:[3,0,1,2] row_mask:0xf bank_mask:0xf
	s_waitcnt lgkmcnt(0)
	v_cndmask_b32_e64 v77, v13, v15, s[76:77]
	v_cmp_eq_u32_e64 s[76:77], 1, v55
	ds_bpermute_b32 v0, v53, v0
	s_nop 0
	v_cndmask_b32_e64 v78, v13, v15, s[76:77]
	v_cmp_eq_u32_e64 s[76:77], 1, v56
	s_nop 1
	v_cndmask_b32_e64 v79, v13, v15, s[76:77]
	v_cmp_eq_u32_e64 s[76:77], 1, v57
	;; [unrolled: 3-line block ×111, first 2 shown]
	ds_bpermute_b32 v9, v52, v8
	s_nop 0
	v_cndmask_b32_e64 v8, v10, v1, s[76:77]
	v_cmp_eq_u32_e64 s[76:77], 9, v54
	s_nop 1
	v_cndmask_b32_e64 v8, v8, v2, s[76:77]
	v_cmp_eq_u32_e64 s[76:77], 10, v54
	s_nop 1
	v_cndmask_b32_e64 v8, v8, v3, s[76:77]
	v_cmp_eq_u32_e64 s[76:77], 11, v54
	s_nop 1
	v_cndmask_b32_e64 v8, v8, v4, s[76:77]
	v_cmp_eq_u32_e64 s[76:77], 12, v54
	s_nop 1
	v_cndmask_b32_e64 v8, v8, v6, s[76:77]
	v_cmp_eq_u32_e64 s[76:77], 13, v54
	s_nop 1
	v_cndmask_b32_e64 v8, v8, v7, s[76:77]
	v_cmp_eq_u32_e64 s[76:77], 14, v54
	s_waitcnt lgkmcnt(0)
	s_nop 0
	v_cndmask_b32_e64 v8, v8, v9, s[76:77]
	v_cmp_eq_u32_e64 s[76:77], 8, v55
	s_nop 1
	v_cndmask_b32_e64 v10, v11, v1, s[76:77]
	v_cmp_eq_u32_e64 s[76:77], 9, v55
	;; [unrolled: 3-line block ×62, first 2 shown]
	ds_bpermute_b32 v11, v51, v5
	s_nop 0
	v_cndmask_b32_e64 v10, v13, v4, s[76:77]
	v_cmp_eq_u32_e64 s[76:77], 12, v58
	s_nop 1
	v_cndmask_b32_e64 v10, v10, v6, s[76:77]
	v_cmp_eq_u32_e64 s[76:77], 13, v58
	s_nop 1
	v_cndmask_b32_e64 v10, v10, v7, s[76:77]
	v_cmp_eq_u32_e64 s[76:77], 14, v58
	s_nop 1
	v_cndmask_b32_e64 v10, v10, v9, s[76:77]
	v_cmp_eq_u32_e64 s[76:77], 15, v58
	s_nop 1
	v_cndmask_b32_e64 v12, v10, v0, s[76:77]
	v_cmp_eq_u32_e64 s[76:77], 11, v59
	ds_bpermute_b32 v12, v50, v12
	s_nop 0
	v_cndmask_b32_e64 v10, v14, v4, s[76:77]
	v_cmp_eq_u32_e64 s[76:77], 12, v59
	s_nop 1
	v_cndmask_b32_e64 v10, v10, v6, s[76:77]
	v_cmp_eq_u32_e64 s[76:77], 13, v59
	s_nop 1
	v_cndmask_b32_e64 v10, v10, v7, s[76:77]
	v_cmp_eq_u32_e64 s[76:77], 14, v59
	s_nop 1
	v_cndmask_b32_e64 v10, v10, v9, s[76:77]
	v_cmp_eq_u32_e64 s[76:77], 15, v59
	s_nop 1
	v_cndmask_b32_e64 v13, v10, v0, s[76:77]
	v_cmp_eq_u32_e64 s[76:77], 11, v60
	;; [unrolled: 16-line block ×5, first 2 shown]
	s_nop 1
	v_cndmask_b32_e64 v10, v79, v4, s[76:77]
	v_cmp_eq_u32_e64 s[76:77], 12, v63
	s_nop 1
	v_cndmask_b32_e64 v10, v10, v6, s[76:77]
	v_cmp_eq_u32_e64 s[76:77], 13, v63
	;; [unrolled: 3-line block ×5, first 2 shown]
	ds_bpermute_b32 v5, v45, v78
	s_nop 0
	v_cndmask_b32_e64 v10, v80, v4, s[76:77]
	v_cmp_eq_u32_e64 s[76:77], 12, v64
	s_nop 1
	v_cndmask_b32_e64 v10, v10, v6, s[76:77]
	v_cmp_eq_u32_e64 s[76:77], 13, v64
	;; [unrolled: 3-line block ×25, first 2 shown]
	ds_bpermute_b32 v10, v52, v3
	s_nop 0
	v_cndmask_b32_e64 v1, v1, v4, s[76:77]
	v_cmp_eq_u32_e64 s[76:77], 12, v69
	ds_bpermute_b32 v4, v46, v77
	s_nop 0
	v_cndmask_b32_e64 v1, v1, v6, s[76:77]
	v_cmp_eq_u32_e64 s[76:77], 13, v69
	;; [unrolled: 4-line block ×4, first 2 shown]
	ds_bpermute_b32 v9, v53, v2
	ds_bpermute_b32 v2, v40, v83
	v_cndmask_b32_e64 v84, v1, v0, s[76:77]
	ds_bpermute_b32 v0, v42, v81
	ds_bpermute_b32 v1, v41, v82
	;; [unrolled: 1-line block ×3, first 2 shown]
	s_cbranch_scc1 .LBB104_2
; %bb.3:
	s_branch .LBB104_5
.LBB104_4:
	s_waitcnt lgkmcnt(8)
	v_mov_b64_e32 v[10:11], v[18:19]
	v_mov_b64_e32 v[12:13], v[20:21]
	;; [unrolled: 1-line block ×3, first 2 shown]
	s_waitcnt lgkmcnt(7)
	v_mov_b64_e32 v[4:5], v[24:25]
	s_waitcnt lgkmcnt(5)
	v_mov_b64_e32 v[6:7], v[26:27]
	;; [unrolled: 2-line block ×4, first 2 shown]
	v_mov_b64_e32 v[8:9], v[16:17]
.LBB104_5:
	s_load_dwordx2 s[0:1], s[0:1], 0x0
	v_lshl_or_b32 v16, s2, 12, v16
	v_mov_b32_e32 v17, 0
	s_waitcnt lgkmcnt(0)
	v_lshl_add_u64 v[16:17], v[16:17], 2, s[0:1]
	global_store_dwordx4 v[16:17], v[8:11], off
	global_store_dwordx4 v[16:17], v[12:15], off offset:16
	global_store_dwordx4 v[16:17], v[4:7], off offset:32
	;; [unrolled: 1-line block ×3, first 2 shown]
	s_endpgm
.LBB104_6:
                                        ; implicit-def: $vgpr8_vgpr9
                                        ; implicit-def: $vgpr2_vgpr3
                                        ; implicit-def: $vgpr6_vgpr7
                                        ; implicit-def: $vgpr14_vgpr15
	s_cbranch_execnz .LBB104_4
	s_branch .LBB104_5
	.section	.rodata,"a",@progbits
	.p2align	6, 0x0
	.amdhsa_kernel _Z20warp_exchange_kernelILj256ELj16ELj64EN6common25BlockedToStripedShuffleOpEiEvPT3_j
		.amdhsa_group_segment_fixed_size 0
		.amdhsa_private_segment_fixed_size 0
		.amdhsa_kernarg_size 12
		.amdhsa_user_sgpr_count 2
		.amdhsa_user_sgpr_dispatch_ptr 0
		.amdhsa_user_sgpr_queue_ptr 0
		.amdhsa_user_sgpr_kernarg_segment_ptr 1
		.amdhsa_user_sgpr_dispatch_id 0
		.amdhsa_user_sgpr_kernarg_preload_length 0
		.amdhsa_user_sgpr_kernarg_preload_offset 0
		.amdhsa_user_sgpr_private_segment_size 0
		.amdhsa_uses_dynamic_stack 0
		.amdhsa_enable_private_segment 0
		.amdhsa_system_sgpr_workgroup_id_x 1
		.amdhsa_system_sgpr_workgroup_id_y 0
		.amdhsa_system_sgpr_workgroup_id_z 0
		.amdhsa_system_sgpr_workgroup_info 0
		.amdhsa_system_vgpr_workitem_id 0
		.amdhsa_next_free_vgpr 92
		.amdhsa_next_free_sgpr 80
		.amdhsa_accum_offset 92
		.amdhsa_reserve_vcc 1
		.amdhsa_float_round_mode_32 0
		.amdhsa_float_round_mode_16_64 0
		.amdhsa_float_denorm_mode_32 3
		.amdhsa_float_denorm_mode_16_64 3
		.amdhsa_dx10_clamp 1
		.amdhsa_ieee_mode 1
		.amdhsa_fp16_overflow 0
		.amdhsa_tg_split 0
		.amdhsa_exception_fp_ieee_invalid_op 0
		.amdhsa_exception_fp_denorm_src 0
		.amdhsa_exception_fp_ieee_div_zero 0
		.amdhsa_exception_fp_ieee_overflow 0
		.amdhsa_exception_fp_ieee_underflow 0
		.amdhsa_exception_fp_ieee_inexact 0
		.amdhsa_exception_int_div_zero 0
	.end_amdhsa_kernel
	.section	.text._Z20warp_exchange_kernelILj256ELj16ELj64EN6common25BlockedToStripedShuffleOpEiEvPT3_j,"axG",@progbits,_Z20warp_exchange_kernelILj256ELj16ELj64EN6common25BlockedToStripedShuffleOpEiEvPT3_j,comdat
.Lfunc_end104:
	.size	_Z20warp_exchange_kernelILj256ELj16ELj64EN6common25BlockedToStripedShuffleOpEiEvPT3_j, .Lfunc_end104-_Z20warp_exchange_kernelILj256ELj16ELj64EN6common25BlockedToStripedShuffleOpEiEvPT3_j
                                        ; -- End function
	.section	.AMDGPU.csdata,"",@progbits
; Kernel info:
; codeLenInByte = 10552
; NumSgprs: 86
; NumVgprs: 92
; NumAgprs: 0
; TotalNumVgprs: 92
; ScratchSize: 0
; MemoryBound: 0
; FloatMode: 240
; IeeeMode: 1
; LDSByteSize: 0 bytes/workgroup (compile time only)
; SGPRBlocks: 10
; VGPRBlocks: 11
; NumSGPRsForWavesPerEU: 86
; NumVGPRsForWavesPerEU: 92
; AccumOffset: 92
; Occupancy: 5
; WaveLimiterHint : 0
; COMPUTE_PGM_RSRC2:SCRATCH_EN: 0
; COMPUTE_PGM_RSRC2:USER_SGPR: 2
; COMPUTE_PGM_RSRC2:TRAP_HANDLER: 0
; COMPUTE_PGM_RSRC2:TGID_X_EN: 1
; COMPUTE_PGM_RSRC2:TGID_Y_EN: 0
; COMPUTE_PGM_RSRC2:TGID_Z_EN: 0
; COMPUTE_PGM_RSRC2:TIDIG_COMP_CNT: 0
; COMPUTE_PGM_RSRC3_GFX90A:ACCUM_OFFSET: 22
; COMPUTE_PGM_RSRC3_GFX90A:TG_SPLIT: 0
	.section	.text._Z20warp_exchange_kernelILj256ELj64ELj64EN6common25BlockedToStripedShuffleOpEiEvPT3_j,"axG",@progbits,_Z20warp_exchange_kernelILj256ELj64ELj64EN6common25BlockedToStripedShuffleOpEiEvPT3_j,comdat
	.protected	_Z20warp_exchange_kernelILj256ELj64ELj64EN6common25BlockedToStripedShuffleOpEiEvPT3_j ; -- Begin function _Z20warp_exchange_kernelILj256ELj64ELj64EN6common25BlockedToStripedShuffleOpEiEvPT3_j
	.globl	_Z20warp_exchange_kernelILj256ELj64ELj64EN6common25BlockedToStripedShuffleOpEiEvPT3_j
	.p2align	8
	.type	_Z20warp_exchange_kernelILj256ELj64ELj64EN6common25BlockedToStripedShuffleOpEiEvPT3_j,@function
_Z20warp_exchange_kernelILj256ELj64ELj64EN6common25BlockedToStripedShuffleOpEiEvPT3_j: ; @_Z20warp_exchange_kernelILj256ELj64ELj64EN6common25BlockedToStripedShuffleOpEiEvPT3_j
; %bb.0:
	s_load_dword s3, s[0:1], 0x8
	v_lshlrev_b32_e32 v64, 6, v0
	v_or_b32_e32 v53, 1, v64
	v_or_b32_e32 v55, 3, v64
	;; [unrolled: 1-line block ×62, first 2 shown]
	s_waitcnt lgkmcnt(0)
	s_cmp_eq_u32 s3, 0
	v_or_b32_e32 v46, 62, v64
	s_cbranch_scc1 .LBB105_3
; %bb.1:
	v_mbcnt_lo_u32_b32 v52, -1, 0
	v_mbcnt_hi_u32_b32 v52, -1, v52
	v_and_b32_e32 v65, 32, v52
	v_lshlrev_b32_e32 v66, 2, v65
	v_xor_b32_e32 v66, 0x80, v66
	v_add_u32_e32 v66, 0, v66
	v_and_b32_e32 v68, 64, v52
	v_accvgpr_write_b32 a0, v66
	v_xor_b32_e32 v66, 32, v52
	v_add_u32_e32 v68, 64, v68
	v_cmp_lt_i32_e32 vcc, v66, v68
	v_and_b32_e32 v76, 16, v52
	v_and_b32_e32 v86, 8, v52
	v_and_b32_e32 v95, 4, v52
	v_mov_b32_e32 v67, 0
	v_cndmask_b32_e32 v66, v52, v66, vcc
	v_mov_b32_e32 v102, 0x84
	v_cmp_eq_u32_e32 vcc, 0, v65
	v_lshlrev_b32_e32 v75, 2, v76
	v_lshlrev_b32_e32 v85, 2, v86
	;; [unrolled: 1-line block ×3, first 2 shown]
	v_cndmask_b32_e32 v65, 4, v102, vcc
	v_xad_u32 v75, v75, 64, v67
	v_xad_u32 v85, v85, 32, v67
	;; [unrolled: 1-line block ×3, first 2 shown]
	v_and_b32_e32 v67, 2, v52
	v_and_b32_e32 v52, 1, v52
	v_accvgpr_write_b32 a1, v65
	v_mov_b32_e32 v65, 0x88
	v_mov_b32_e32 v103, 0x8c
	;; [unrolled: 1-line block ×14, first 2 shown]
	v_cmp_eq_u32_e64 s[12:13], 0, v76
	v_mov_b32_e32 v101, 0x80
	v_cmp_eq_u32_e64 s[4:5], 0, v86
	v_cmp_eq_u32_e64 s[6:7], 0, v95
	;; [unrolled: 1-line block ×4, first 2 shown]
	v_cndmask_b32_e32 v68, 8, v65, vcc
	v_cndmask_b32_e32 v69, 12, v103, vcc
	v_mov_b32_e32 v167, 0xe0
	v_cndmask_b32_e64 v77, v101, v140, s[12:13]
	v_cndmask_b32_e64 v78, v102, v144, s[12:13]
	;; [unrolled: 1-line block ×16, first 2 shown]
	v_mov_b32_e32 v65, 0xe4
	v_mov_b32_e32 v173, 0xe8
	;; [unrolled: 1-line block ×7, first 2 shown]
	v_cndmask_b32_e64 v109, v112, v167, s[12:13]
	v_cndmask_b32_e64 v114, v116, v65, s[12:13]
	;; [unrolled: 1-line block ×4, first 2 shown]
	v_mov_b32_e32 v227, 0x48
	v_cndmask_b32_e32 v164, v188, v167, vcc
	v_cndmask_b32_e64 v165, v167, v178, s[6:7]
	v_cndmask_b32_e64 v166, v167, v173, s[8:9]
	;; [unrolled: 1-line block ×3, first 2 shown]
	v_cndmask_b32_e32 v168, v192, v65, vcc
	v_cndmask_b32_e64 v169, v65, v180, s[6:7]
	v_cndmask_b32_e64 v170, v65, v175, s[8:9]
	v_mov_b32_e32 v65, 0x68
	v_mov_b32_e32 v199, 0x6c
	;; [unrolled: 1-line block ×3, first 2 shown]
	v_cndmask_b32_e32 v171, v65, v173, vcc
	v_cndmask_b32_e64 v187, v188, v65, s[8:9]
	v_cndmask_b32_e64 v193, 40, v65, s[12:13]
	;; [unrolled: 1-line block ×5, first 2 shown]
	v_lshlrev_b32_e32 v65, 2, v67
	v_lshlrev_b32_e32 v52, 2, v52
	v_mov_b32_e32 v127, 0xb0
	v_mov_b32_e32 v130, 0xb4
	;; [unrolled: 1-line block ×9, first 2 shown]
	v_cndmask_b32_e64 v232, 4, 12, s[8:9]
	v_cndmask_b32_e64 v233, 8, 12, s[10:11]
	v_mov_b32_e32 v182, 0xf8
	v_bfrev_b32_e32 v183, 0.5
	v_mov_b32_e32 v229, 0x4c
	v_mov_b32_e32 v215, 0x50
	;; [unrolled: 1-line block ×8, first 2 shown]
	v_xor_b32_e32 v65, 8, v65
	v_xor_b32_e32 v52, 4, v52
	v_lshlrev_b32_e32 v66, 2, v66
	v_cndmask_b32_e32 v70, 16, v105, vcc
	v_cndmask_b32_e32 v71, 20, v106, vcc
	;; [unrolled: 1-line block ×5, first 2 shown]
	v_cndmask_b32_e64 v76, 4, v231, s[12:13]
	v_cndmask_b32_e64 v81, v105, v155, s[12:13]
	;; [unrolled: 1-line block ×18, first 2 shown]
	v_cndmask_b32_e32 v113, 36, v116, vcc
	v_cndmask_b32_e64 v115, v116, v130, s[6:7]
	v_cndmask_b32_e64 v116, v116, v123, s[8:9]
	v_cndmask_b32_e32 v117, 40, v120, vcc
	v_cndmask_b32_e64 v118, v120, v173, s[12:13]
	v_cndmask_b32_e64 v119, v120, v133, s[6:7]
	;; [unrolled: 1-line block ×3, first 2 shown]
	v_cndmask_b32_e32 v121, 44, v123, vcc
	v_cndmask_b32_e64 v122, v123, v175, s[12:13]
	v_cndmask_b32_e64 v123, v123, v135, s[6:7]
	v_cndmask_b32_e32 v124, 48, v127, vcc
	v_cndmask_b32_e64 v125, v127, v178, s[12:13]
	v_cndmask_b32_e64 v126, v127, v133, s[8:9]
	;; [unrolled: 1-line block ×3, first 2 shown]
	v_cndmask_b32_e32 v128, 52, v130, vcc
	v_cndmask_b32_e64 v129, v130, v180, s[12:13]
	v_cndmask_b32_e64 v130, v130, v135, s[8:9]
	v_cndmask_b32_e32 v131, 56, v133, vcc
	v_cndmask_b32_e64 v132, v133, v182, s[12:13]
	v_cndmask_b32_e64 v133, v133, v135, s[10:11]
	v_cndmask_b32_e32 v134, 60, v135, vcc
	v_cndmask_b32_e64 v135, v135, v183, s[12:13]
	v_cndmask_b32_e32 v136, 64, v140, vcc
	v_cndmask_b32_e64 v138, v140, v155, s[6:7]
	v_cndmask_b32_e64 v139, v140, v148, s[8:9]
	v_cndmask_b32_e64 v140, v140, v144, s[10:11]
	v_cndmask_b32_e32 v141, v231, v144, vcc
	v_cndmask_b32_e64 v143, v144, v158, s[6:7]
	v_cndmask_b32_e64 v144, v144, v151, s[8:9]
	v_cndmask_b32_e32 v145, v227, v148, vcc
	v_cndmask_b32_e64 v146, v148, v173, s[4:5]
	v_cndmask_b32_e64 v147, v148, v161, s[6:7]
	v_cndmask_b32_e64 v148, v148, v151, s[10:11]
	v_cndmask_b32_e32 v149, v229, v151, vcc
	v_cndmask_b32_e64 v150, v151, v175, s[4:5]
	;; [unrolled: 7-line block ×3, first 2 shown]
	v_cndmask_b32_e64 v158, v158, v163, s[8:9]
	v_cndmask_b32_e32 v159, v221, v161, vcc
	v_cndmask_b32_e64 v160, v161, v182, s[4:5]
	v_cndmask_b32_e64 v161, v161, v163, s[10:11]
	v_cndmask_b32_e32 v162, v223, v163, vcc
	v_cndmask_b32_e64 v163, v163, v183, s[4:5]
	v_cndmask_b32_e64 v172, v173, v182, s[6:7]
	v_cndmask_b32_e64 v173, v173, v175, s[10:11]
	v_cndmask_b32_e32 v174, v199, v175, vcc
	v_cndmask_b32_e64 v175, v175, v183, s[6:7]
	v_cndmask_b32_e32 v176, v203, v178, vcc
	v_cndmask_b32_e64 v177, v178, v182, s[8:9]
	v_cndmask_b32_e64 v178, v178, v180, s[10:11]
	v_cndmask_b32_e32 v179, v206, v180, vcc
	v_cndmask_b32_e64 v180, v180, v183, s[8:9]
	v_cndmask_b32_e32 v181, v209, v182, vcc
	;; [unrolled: 2-line block ×3, first 2 shown]
	v_cndmask_b32_e64 v184, 32, v188, s[12:13]
	v_cndmask_b32_e64 v185, 64, v188, s[4:5]
	;; [unrolled: 1-line block ×35, first 2 shown]
	v_or_b32_e32 v224, 0, v65
	v_cndmask_b32_e64 v225, 8, v227, s[12:13]
	v_cndmask_b32_e64 v226, 64, v227, s[8:9]
	;; [unrolled: 1-line block ×5, first 2 shown]
	v_or_b32_e32 v230, 0, v52
	v_cndmask_b32_e64 v231, 64, v231, s[10:11]
	v_or_b32_e32 v232, 0, v232
	v_or_b32_e32 v233, 0, v233
	v_cndmask_b32_e64 v234, 8, 40, s[4:5]
	v_cndmask_b32_e64 v235, 12, 44, s[4:5]
	;; [unrolled: 1-line block ×24, first 2 shown]
	v_mov_b32_e32 v52, v64
.LBB105_2:                              ; =>This Inner Loop Header: Depth=1
	s_waitcnt vmcnt(6)
	scratch_store_dwordx4 off, v[52:55], off
	scratch_store_dwordx4 off, v[40:43], off offset:16
	scratch_store_dwordx4 off, v[36:39], off offset:32
	;; [unrolled: 1-line block ×10, first 2 shown]
	v_accvgpr_read_b32 v13, a0
	scratch_load_dword v12, v13, off
	s_add_i32 s3, s3, -1
	scratch_store_dwordx4 off, v[0:3], off offset:176
	s_waitcnt vmcnt(18)
	scratch_store_dwordx4 off, v[60:63], off offset:192
	s_cmp_lg_u32 s3, 0
	s_waitcnt vmcnt(2)
	ds_bpermute_b32 v12, v66, v12
	s_waitcnt lgkmcnt(0)
	scratch_store_dword v13, v12, off
	v_accvgpr_read_b32 v13, a1
	scratch_load_dword v12, v13, off
	s_waitcnt vmcnt(0)
	ds_bpermute_b32 v12, v66, v12
	s_waitcnt lgkmcnt(0)
	scratch_store_dword v13, v12, off
	scratch_load_dword v12, v68, off
	s_waitcnt vmcnt(0)
	ds_bpermute_b32 v12, v66, v12
	s_waitcnt lgkmcnt(0)
	scratch_store_dword v68, v12, off
	;; [unrolled: 5-line block ×16, first 2 shown]
	scratch_load_dword v0, v141, off
	s_nop 0
	scratch_load_dword v1, v75, off
	s_waitcnt vmcnt(1)
	ds_bpermute_b32 v0, v66, v0
	s_waitcnt vmcnt(0)
	ds_swizzle_b32 v1, v1 offset:swizzle(SWAP,16)
	scratch_store_dwordx4 off, v[56:59], off offset:208
	scratch_store_dwordx4 off, v[48:51], off offset:224
	s_waitcnt lgkmcnt(1)
	scratch_store_dword v141, v0, off
	scratch_load_dword v0, v145, off
	s_waitcnt lgkmcnt(0)
	scratch_store_dword v75, v1, off
	scratch_load_dword v1, v76, off
	s_waitcnt vmcnt(2)
	ds_bpermute_b32 v0, v66, v0
	s_waitcnt vmcnt(0)
	ds_swizzle_b32 v1, v1 offset:swizzle(SWAP,16)
	s_waitcnt lgkmcnt(1)
	scratch_store_dword v145, v0, off
	scratch_load_dword v0, v149, off
	s_waitcnt lgkmcnt(0)
	scratch_store_dword v76, v1, off
	scratch_load_dword v1, v225, off
	s_waitcnt vmcnt(2)
	ds_bpermute_b32 v0, v66, v0
	s_waitcnt vmcnt(0)
	ds_swizzle_b32 v1, v1 offset:swizzle(SWAP,16)
	;; [unrolled: 10-line block ×8, first 2 shown]
	s_waitcnt lgkmcnt(1)
	scratch_store_dword v168, v0, off
	scratch_load_dword v0, v171, off
	s_waitcnt vmcnt(0)
	ds_bpermute_b32 v0, v66, v0
	s_waitcnt lgkmcnt(1)
	scratch_store_dword v184, v1, off
	scratch_load_dword v1, v189, off
	s_nop 0
	scratch_load_dword v2, v85, off
	s_waitcnt vmcnt(1)
	ds_swizzle_b32 v1, v1 offset:swizzle(SWAP,16)
	s_waitcnt lgkmcnt(1)
	scratch_store_dword v171, v0, off
	scratch_load_dword v0, v174, off
	s_waitcnt vmcnt(2)
	ds_swizzle_b32 v2, v2 offset:swizzle(SWAP,8)
	scratch_store_dwordx4 off, v[44:47], off offset:240
	s_waitcnt lgkmcnt(1)
	scratch_store_dword v189, v1, off
	s_waitcnt lgkmcnt(0)
	scratch_store_dword v85, v2, off
	scratch_load_dword v1, v193, off
	s_nop 0
	scratch_load_dword v2, v86, off
	s_waitcnt vmcnt(5)
	ds_bpermute_b32 v0, v66, v0
	s_waitcnt lgkmcnt(0)
	scratch_store_dword v174, v0, off
	scratch_load_dword v0, v176, off
	s_waitcnt vmcnt(3)
	ds_swizzle_b32 v1, v1 offset:swizzle(SWAP,16)
	s_waitcnt vmcnt(2)
	ds_swizzle_b32 v2, v2 offset:swizzle(SWAP,8)
	s_waitcnt lgkmcnt(1)
	scratch_store_dword v193, v1, off
	s_waitcnt lgkmcnt(0)
	scratch_store_dword v86, v2, off
	scratch_load_dword v1, v197, off
	s_nop 0
	scratch_load_dword v2, v234, off
	s_waitcnt vmcnt(4)
	ds_bpermute_b32 v0, v66, v0
	s_waitcnt lgkmcnt(0)
	scratch_store_dword v176, v0, off
	scratch_load_dword v0, v179, off
	s_waitcnt vmcnt(3)
	ds_swizzle_b32 v1, v1 offset:swizzle(SWAP,16)
	s_waitcnt vmcnt(2)
	ds_swizzle_b32 v2, v2 offset:swizzle(SWAP,8)
	;; [unrolled: 16-line block ×4, first 2 shown]
	s_waitcnt lgkmcnt(1)
	scratch_store_dword v204, v1, off
	s_waitcnt lgkmcnt(0)
	scratch_store_dword v236, v2, off
	scratch_load_dword v1, v207, off
	s_nop 0
	scratch_load_dword v2, v237, off
	scratch_load_dword v3, v94, off
	s_waitcnt vmcnt(5)
	ds_bpermute_b32 v0, v66, v0
	s_waitcnt lgkmcnt(0)
	scratch_store_dword v183, v0, off
	scratch_load_dword v0, v77, off
	s_waitcnt vmcnt(4)
	ds_swizzle_b32 v1, v1 offset:swizzle(SWAP,16)
	s_waitcnt vmcnt(3)
	ds_swizzle_b32 v2, v2 offset:swizzle(SWAP,8)
	s_waitcnt vmcnt(2)
	ds_swizzle_b32 v3, v3 offset:swizzle(SWAP,4)
	s_waitcnt lgkmcnt(2)
	scratch_store_dword v207, v1, off
	s_waitcnt lgkmcnt(1)
	scratch_store_dword v237, v2, off
	;; [unrolled: 2-line block ×3, first 2 shown]
	scratch_load_dword v1, v238, off
	scratch_load_dword v2, v95, off
	s_nop 0
	scratch_load_dword v3, v210, off
	s_waitcnt vmcnt(6)
	ds_swizzle_b32 v0, v0 offset:swizzle(SWAP,16)
	s_waitcnt lgkmcnt(0)
	scratch_store_dword v77, v0, off
	scratch_load_dword v0, v78, off
	s_waitcnt vmcnt(2)
	ds_swizzle_b32 v3, v3 offset:swizzle(SWAP,16)
	ds_swizzle_b32 v1, v1 offset:swizzle(SWAP,8)
	;; [unrolled: 1-line block ×3, first 2 shown]
	s_waitcnt lgkmcnt(2)
	scratch_store_dword v210, v3, off
	s_waitcnt lgkmcnt(1)
	scratch_store_dword v238, v1, off
	;; [unrolled: 2-line block ×3, first 2 shown]
	scratch_load_dword v1, v239, off
	s_nop 0
	scratch_load_dword v2, v240, off
	s_waitcnt vmcnt(5)
	ds_swizzle_b32 v0, v0 offset:swizzle(SWAP,16)
	s_waitcnt lgkmcnt(0)
	scratch_store_dword v78, v0, off
	scratch_load_dword v0, v79, off
	s_waitcnt vmcnt(3)
	ds_swizzle_b32 v1, v1 offset:swizzle(SWAP,8)
	s_waitcnt vmcnt(2)
	ds_swizzle_b32 v2, v2 offset:swizzle(SWAP,4)
	s_waitcnt lgkmcnt(1)
	scratch_store_dword v239, v1, off
	s_waitcnt lgkmcnt(0)
	scratch_store_dword v240, v2, off
	scratch_load_dword v1, v185, off
	s_nop 0
	scratch_load_dword v2, v241, off
	scratch_load_dword v3, v224, off
	s_waitcnt vmcnt(5)
	ds_swizzle_b32 v0, v0 offset:swizzle(SWAP,16)
	s_waitcnt lgkmcnt(0)
	scratch_store_dword v79, v0, off
	scratch_load_dword v0, v80, off
	s_waitcnt vmcnt(4)
	ds_swizzle_b32 v1, v1 offset:swizzle(SWAP,8)
	s_waitcnt vmcnt(3)
	ds_swizzle_b32 v2, v2 offset:swizzle(SWAP,4)
	;; [unrolled: 2-line block ×3, first 2 shown]
	s_waitcnt lgkmcnt(2)
	scratch_store_dword v185, v1, off
	s_waitcnt lgkmcnt(1)
	scratch_store_dword v241, v2, off
	;; [unrolled: 2-line block ×3, first 2 shown]
	scratch_load_dword v1, v190, off
	scratch_load_dword v2, v242, off
	s_nop 0
	scratch_load_dword v3, v232, off
	scratch_load_dword v4, v246, off
	s_waitcnt vmcnt(7)
	ds_swizzle_b32 v0, v0 offset:swizzle(SWAP,16)
	s_waitcnt lgkmcnt(0)
	scratch_store_dword v80, v0, off
	scratch_load_dword v5, v81, off
	s_waitcnt vmcnt(5)
	ds_swizzle_b32 v0, v1 offset:swizzle(SWAP,8)
	s_waitcnt vmcnt(4)
	ds_swizzle_b32 v1, v2 offset:swizzle(SWAP,4)
	;; [unrolled: 2-line block ×4, first 2 shown]
	s_waitcnt lgkmcnt(3)
	scratch_store_dword v190, v0, off
	s_waitcnt lgkmcnt(2)
	scratch_store_dword v242, v1, off
	;; [unrolled: 2-line block ×4, first 2 shown]
	scratch_load_dword v1, v194, off
	scratch_load_dword v2, v243, off
	s_nop 0
	scratch_load_dword v3, v247, off
	scratch_load_dword v0, v233, off
	s_waitcnt vmcnt(8)
	ds_swizzle_b32 v4, v5 offset:swizzle(SWAP,16)
	s_waitcnt vmcnt(3)
	ds_swizzle_b32 v1, v1 offset:swizzle(SWAP,8)
	s_waitcnt lgkmcnt(1)
	scratch_store_dword v81, v4, off
	scratch_load_dword v4, v82, off
	s_waitcnt vmcnt(4)
	ds_swizzle_b32 v2, v2 offset:swizzle(SWAP,4)
	s_waitcnt lgkmcnt(1)
	scratch_store_dword v194, v1, off
	s_waitcnt lgkmcnt(0)
	scratch_store_dword v243, v2, off
	scratch_load_dword v2, v198, off
	s_nop 0
	scratch_load_dword v5, v244, off
	scratch_load_dword v1, v230, off
	s_waitcnt vmcnt(8)
	ds_swizzle_b32 v3, v3 offset:swizzle(SWAP,2)
	s_waitcnt vmcnt(7)
	ds_swizzle_b32 v0, v0 offset:swizzle(SWAP,1)
	s_waitcnt lgkmcnt(1)
	scratch_store_dword v247, v3, off
	s_waitcnt vmcnt(6)
	ds_swizzle_b32 v4, v4 offset:swizzle(SWAP,16)
	s_waitcnt vmcnt(3)
	ds_swizzle_b32 v2, v2 offset:swizzle(SWAP,8)
	s_waitcnt lgkmcnt(1)
	scratch_store_dword v82, v4, off
	scratch_load_dword v4, v83, off
	s_waitcnt vmcnt(4)
	ds_swizzle_b32 v3, v5 offset:swizzle(SWAP,4)
	s_waitcnt lgkmcnt(1)
	scratch_store_dword v198, v2, off
	s_waitcnt lgkmcnt(0)
	scratch_store_dword v244, v3, off
	scratch_load_dword v3, v201, off
	s_nop 0
	scratch_load_dword v5, v245, off
	scratch_load_dword v6, v248, off
	;; [unrolled: 1-line block ×3, first 2 shown]
	s_waitcnt vmcnt(6)
	ds_swizzle_b32 v4, v4 offset:swizzle(SWAP,16)
	s_waitcnt vmcnt(3)
	ds_swizzle_b32 v3, v3 offset:swizzle(SWAP,8)
	;; [unrolled: 2-line block ×3, first 2 shown]
	s_waitcnt lgkmcnt(2)
	scratch_store_dword v83, v4, off
	scratch_load_dword v4, v84, off
	s_waitcnt vmcnt(3)
	ds_swizzle_b32 v6, v6 offset:swizzle(SWAP,2)
	s_waitcnt lgkmcnt(2)
	scratch_store_dword v201, v3, off
	s_waitcnt lgkmcnt(1)
	scratch_store_dword v245, v5, off
	;; [unrolled: 2-line block ×3, first 2 shown]
	scratch_load_dword v5, v205, off
	s_nop 0
	scratch_load_dword v6, v213, off
	scratch_load_dword v7, v249, off
	;; [unrolled: 1-line block ×3, first 2 shown]
	s_waitcnt vmcnt(7)
	ds_swizzle_b32 v4, v4 offset:swizzle(SWAP,16)
	s_waitcnt lgkmcnt(0)
	scratch_store_dword v84, v4, off
	scratch_load_dword v8, v109, off
	s_waitcnt vmcnt(5)
	ds_swizzle_b32 v4, v5 offset:swizzle(SWAP,8)
	s_waitcnt vmcnt(4)
	ds_swizzle_b32 v5, v6 offset:swizzle(SWAP,4)
	;; [unrolled: 2-line block ×3, first 2 shown]
	s_waitcnt lgkmcnt(2)
	scratch_store_dword v205, v4, off
	s_waitcnt lgkmcnt(1)
	scratch_store_dword v213, v5, off
	;; [unrolled: 2-line block ×3, first 2 shown]
	scratch_load_dword v5, v208, off
	s_nop 0
	scratch_load_dword v6, v217, off
	scratch_load_dword v7, v250, off
	;; [unrolled: 1-line block ×3, first 2 shown]
	s_waitcnt vmcnt(9)
	ds_swizzle_b32 v3, v3 offset:swizzle(SWAP,1)
	s_waitcnt vmcnt(7)
	ds_swizzle_b32 v8, v8 offset:swizzle(SWAP,16)
	;; [unrolled: 2-line block ×3, first 2 shown]
	s_waitcnt lgkmcnt(1)
	scratch_store_dword v109, v8, off
	scratch_load_dword v8, v114, off
	s_waitcnt vmcnt(4)
	ds_swizzle_b32 v6, v6 offset:swizzle(SWAP,4)
	s_waitcnt vmcnt(3)
	ds_swizzle_b32 v7, v7 offset:swizzle(SWAP,2)
	s_waitcnt lgkmcnt(2)
	scratch_store_dword v208, v5, off
	s_waitcnt lgkmcnt(1)
	scratch_store_dword v217, v6, off
	;; [unrolled: 2-line block ×3, first 2 shown]
	scratch_load_dword v6, v211, off
	s_nop 0
	scratch_load_dword v7, v220, off
	scratch_load_dword v9, v251, off
	scratch_load_dword v5, v255, off
	s_waitcnt vmcnt(7)
	ds_swizzle_b32 v8, v8 offset:swizzle(SWAP,16)
	s_waitcnt vmcnt(3)
	ds_swizzle_b32 v6, v6 offset:swizzle(SWAP,8)
	;; [unrolled: 2-line block ×3, first 2 shown]
	s_waitcnt lgkmcnt(2)
	scratch_store_dword v114, v8, off
	scratch_load_dword v8, v118, off
	s_nop 0
	scratch_load_dword v10, v87, off
	s_waitcnt vmcnt(4)
	ds_swizzle_b32 v9, v9 offset:swizzle(SWAP,2)
	s_waitcnt lgkmcnt(2)
	scratch_store_dword v211, v6, off
	s_waitcnt lgkmcnt(1)
	scratch_store_dword v220, v7, off
	;; [unrolled: 2-line block ×3, first 2 shown]
	scratch_load_dword v7, v223, off
	s_nop 0
	scratch_load_dword v9, v226, off
	scratch_load_dword v6, v65, off
	s_waitcnt vmcnt(7)
	ds_swizzle_b32 v8, v8 offset:swizzle(SWAP,16)
	s_waitcnt vmcnt(6)
	ds_swizzle_b32 v10, v10 offset:swizzle(SWAP,8)
	s_waitcnt lgkmcnt(1)
	scratch_store_dword v118, v8, off
	s_waitcnt lgkmcnt(0)
	scratch_store_dword v87, v10, off
	scratch_load_dword v8, v122, off
	s_nop 0
	scratch_load_dword v10, v88, off
	s_waitcnt vmcnt(6)
	ds_swizzle_b32 v7, v7 offset:swizzle(SWAP,4)
	s_waitcnt vmcnt(5)
	ds_swizzle_b32 v9, v9 offset:swizzle(SWAP,2)
	s_waitcnt lgkmcnt(1)
	scratch_store_dword v223, v7, off
	s_waitcnt lgkmcnt(0)
	scratch_store_dword v226, v9, off
	scratch_load_dword v9, v186, off
	s_nop 0
	scratch_load_dword v11, v229, off
	scratch_load_dword v7, v67, off
	s_waitcnt vmcnt(6)
	ds_swizzle_b32 v8, v8 offset:swizzle(SWAP,16)
	s_waitcnt vmcnt(5)
	ds_swizzle_b32 v10, v10 offset:swizzle(SWAP,8)
	s_waitcnt lgkmcnt(1)
	scratch_store_dword v122, v8, off
	s_waitcnt lgkmcnt(0)
	scratch_store_dword v88, v10, off
	scratch_load_dword v10, v125, off
	s_nop 0
	scratch_load_dword v12, v89, off
	s_waitcnt vmcnt(6)
	ds_swizzle_b32 v8, v9 offset:swizzle(SWAP,4)
	s_waitcnt vmcnt(5)
	ds_swizzle_b32 v9, v11 offset:swizzle(SWAP,2)
	s_waitcnt lgkmcnt(1)
	scratch_store_dword v186, v8, off
	s_waitcnt lgkmcnt(0)
	scratch_store_dword v229, v9, off
	scratch_load_dword v9, v191, off
	s_nop 0
	scratch_load_dword v11, v214, off
	scratch_load_dword v8, v231, off
	s_waitcnt vmcnt(6)
	ds_swizzle_b32 v10, v10 offset:swizzle(SWAP,16)
	s_waitcnt vmcnt(5)
	ds_swizzle_b32 v12, v12 offset:swizzle(SWAP,8)
	s_waitcnt lgkmcnt(1)
	scratch_store_dword v125, v10, off
	s_waitcnt lgkmcnt(0)
	scratch_store_dword v89, v12, off
	scratch_load_dword v10, v129, off
	s_nop 0
	scratch_load_dword v12, v90, off
	s_waitcnt vmcnt(6)
	ds_swizzle_b32 v9, v9 offset:swizzle(SWAP,4)
	s_waitcnt vmcnt(5)
	ds_swizzle_b32 v11, v11 offset:swizzle(SWAP,2)
	s_waitcnt lgkmcnt(1)
	scratch_store_dword v191, v9, off
	s_waitcnt lgkmcnt(0)
	scratch_store_dword v214, v11, off
	scratch_load_dword v11, v195, off
	s_nop 0
	scratch_load_dword v13, v218, off
	scratch_load_dword v9, v227, off
	s_waitcnt vmcnt(6)
	ds_swizzle_b32 v10, v10 offset:swizzle(SWAP,16)
	s_waitcnt vmcnt(5)
	ds_swizzle_b32 v12, v12 offset:swizzle(SWAP,8)
	s_waitcnt lgkmcnt(1)
	scratch_store_dword v129, v10, off
	s_waitcnt lgkmcnt(0)
	scratch_store_dword v90, v12, off
	scratch_load_dword v12, v132, off
	s_nop 0
	scratch_load_dword v14, v91, off
	s_waitcnt vmcnt(6)
	ds_swizzle_b32 v10, v11 offset:swizzle(SWAP,4)
	s_waitcnt vmcnt(5)
	ds_swizzle_b32 v11, v13 offset:swizzle(SWAP,2)
	s_waitcnt lgkmcnt(1)
	scratch_store_dword v195, v10, off
	s_waitcnt lgkmcnt(0)
	scratch_store_dword v218, v11, off
	scratch_load_dword v11, v199, off
	s_nop 0
	scratch_load_dword v13, v187, off
	scratch_load_dword v10, v215, off
	s_waitcnt vmcnt(6)
	ds_swizzle_b32 v12, v12 offset:swizzle(SWAP,16)
	s_waitcnt vmcnt(5)
	ds_swizzle_b32 v14, v14 offset:swizzle(SWAP,8)
	s_waitcnt lgkmcnt(1)
	scratch_store_dword v132, v12, off
	s_waitcnt lgkmcnt(0)
	scratch_store_dword v91, v14, off
	scratch_load_dword v12, v135, off
	s_nop 0
	scratch_load_dword v14, v92, off
	s_waitcnt vmcnt(6)
	ds_swizzle_b32 v11, v11 offset:swizzle(SWAP,4)
	s_waitcnt vmcnt(5)
	ds_swizzle_b32 v13, v13 offset:swizzle(SWAP,2)
	s_waitcnt lgkmcnt(1)
	scratch_store_dword v199, v11, off
	s_waitcnt lgkmcnt(0)
	scratch_store_dword v187, v13, off
	scratch_load_dword v13, v96, off
	s_nop 0
	scratch_load_dword v15, v192, off
	scratch_load_dword v11, v221, off
	s_waitcnt vmcnt(6)
	ds_swizzle_b32 v12, v12 offset:swizzle(SWAP,16)
	s_waitcnt vmcnt(5)
	ds_swizzle_b32 v14, v14 offset:swizzle(SWAP,8)
	s_waitcnt lgkmcnt(1)
	scratch_store_dword v135, v12, off
	s_waitcnt lgkmcnt(0)
	scratch_store_dword v92, v14, off
	scratch_load_dword v14, v137, off
	s_nop 0
	scratch_load_dword v16, v93, off
	s_waitcnt vmcnt(6)
	ds_swizzle_b32 v12, v13 offset:swizzle(SWAP,4)
	s_waitcnt vmcnt(5)
	ds_swizzle_b32 v13, v15 offset:swizzle(SWAP,2)
	s_waitcnt lgkmcnt(1)
	scratch_store_dword v96, v12, off
	s_waitcnt lgkmcnt(0)
	scratch_store_dword v192, v13, off
	scratch_load_dword v13, v97, off
	s_nop 0
	scratch_load_dword v15, v202, off
	scratch_load_dword v12, v188, off
	s_waitcnt vmcnt(6)
	ds_swizzle_b32 v14, v14 offset:swizzle(SWAP,8)
	s_waitcnt vmcnt(5)
	ds_swizzle_b32 v16, v16 offset:swizzle(SWAP,8)
	s_waitcnt lgkmcnt(1)
	scratch_store_dword v137, v14, off
	scratch_load_dword v14, v142, off
	s_waitcnt vmcnt(4)
	ds_swizzle_b32 v13, v13 offset:swizzle(SWAP,4)
	s_waitcnt vmcnt(3)
	ds_swizzle_b32 v15, v15 offset:swizzle(SWAP,2)
	s_waitcnt lgkmcnt(2)
	scratch_store_dword v93, v16, off
	s_waitcnt lgkmcnt(1)
	scratch_store_dword v97, v13, off
	;; [unrolled: 2-line block ×3, first 2 shown]
	scratch_load_dword v15, v98, off
	s_nop 0
	scratch_load_dword v16, v206, off
	scratch_load_dword v13, v196, off
	;; [unrolled: 1-line block ×3, first 2 shown]
	s_waitcnt vmcnt(7)
	ds_swizzle_b32 v14, v14 offset:swizzle(SWAP,8)
	s_waitcnt vmcnt(3)
	ds_swizzle_b32 v15, v15 offset:swizzle(SWAP,4)
	;; [unrolled: 2-line block ×3, first 2 shown]
	s_waitcnt lgkmcnt(2)
	scratch_store_dword v142, v14, off
	scratch_load_dword v18, v146, off
	s_waitcnt vmcnt(2)
	ds_swizzle_b32 v14, v17 offset:swizzle(SWAP,8)
	s_waitcnt lgkmcnt(0)
	scratch_store_dword v108, v14, off
	scratch_store_dword v98, v15, off
	;; [unrolled: 1-line block ×3, first 2 shown]
	scratch_load_dword v15, v99, off
	s_nop 0
	scratch_load_dword v16, v100, off
	scratch_load_dword v14, v203, off
	s_waitcnt vmcnt(6)
	ds_swizzle_b32 v17, v18 offset:swizzle(SWAP,8)
	s_waitcnt lgkmcnt(0)
	scratch_store_dword v146, v17, off
	scratch_load_dword v17, v150, off
	s_waitcnt vmcnt(4)
	ds_swizzle_b32 v15, v15 offset:swizzle(SWAP,4)
	s_waitcnt vmcnt(3)
	ds_swizzle_b32 v16, v16 offset:swizzle(SWAP,2)
	s_waitcnt lgkmcnt(1)
	scratch_store_dword v99, v15, off
	s_waitcnt lgkmcnt(0)
	scratch_store_dword v100, v16, off
	scratch_load_dword v16, v110, off
	s_nop 0
	scratch_load_dword v18, v102, off
	scratch_load_dword v15, v209, off
	s_waitcnt vmcnt(5)
	ds_swizzle_b32 v17, v17 offset:swizzle(SWAP,8)
	s_waitcnt lgkmcnt(0)
	scratch_store_dword v150, v17, off
	scratch_load_dword v17, v153, off
	s_waitcnt vmcnt(4)
	ds_swizzle_b32 v16, v16 offset:swizzle(SWAP,4)
	s_waitcnt vmcnt(3)
	ds_swizzle_b32 v18, v18 offset:swizzle(SWAP,2)
	s_waitcnt lgkmcnt(1)
	scratch_store_dword v110, v16, off
	s_waitcnt lgkmcnt(0)
	scratch_store_dword v102, v18, off
	;; [unrolled: 17-line block ×4, first 2 shown]
	scratch_load_dword v16, v123, off
	s_nop 0
	scratch_load_dword v18, v111, off
	scratch_load_dword v46, v105, off
	s_waitcnt vmcnt(5)
	ds_swizzle_b32 v17, v17 offset:swizzle(SWAP,8)
	s_waitcnt lgkmcnt(0)
	scratch_store_dword v160, v17, off
	scratch_load_dword v17, v163, off
	s_nop 0
	scratch_load_dword v19, v138, off
	s_waitcnt vmcnt(5)
	ds_swizzle_b32 v16, v16 offset:swizzle(SWAP,4)
	s_waitcnt vmcnt(4)
	ds_swizzle_b32 v18, v18 offset:swizzle(SWAP,2)
	s_waitcnt lgkmcnt(1)
	scratch_store_dword v123, v16, off
	s_waitcnt lgkmcnt(0)
	scratch_store_dword v111, v18, off
	scratch_load_dword v16, v116, off
	scratch_load_dword v47, v107, off
	s_waitcnt vmcnt(5)
	ds_swizzle_b32 v17, v17 offset:swizzle(SWAP,8)
	s_waitcnt vmcnt(4)
	ds_swizzle_b32 v18, v19 offset:swizzle(SWAP,4)
	s_waitcnt lgkmcnt(1)
	scratch_store_dword v163, v17, off
	s_waitcnt lgkmcnt(0)
	scratch_store_dword v138, v18, off
	scratch_load_dword v17, v143, off
	s_nop 0
	scratch_load_dword v18, v165, off
	s_waitcnt vmcnt(5)
	ds_swizzle_b32 v16, v16 offset:swizzle(SWAP,2)
	s_waitcnt lgkmcnt(0)
	scratch_store_dword v116, v16, off
	scratch_load_dword v16, v126, off
	s_nop 0
	scratch_load_dword v48, v112, off
	s_waitcnt vmcnt(4)
	ds_swizzle_b32 v17, v17 offset:swizzle(SWAP,4)
	s_waitcnt vmcnt(3)
	ds_swizzle_b32 v18, v18 offset:swizzle(SWAP,4)
	s_waitcnt lgkmcnt(1)
	scratch_store_dword v143, v17, off
	s_waitcnt lgkmcnt(0)
	scratch_store_dword v165, v18, off
	scratch_load_dword v17, v147, off
	s_nop 0
	scratch_load_dword v18, v169, off
	s_waitcnt vmcnt(5)
	ds_swizzle_b32 v16, v16 offset:swizzle(SWAP,2)
	s_waitcnt lgkmcnt(0)
	scratch_store_dword v126, v16, off
	scratch_load_dword v16, v130, off
	s_nop 0
	;; [unrolled: 18-line block ×3, first 2 shown]
	scratch_load_dword v50, v127, off
	s_waitcnt vmcnt(4)
	ds_swizzle_b32 v17, v17 offset:swizzle(SWAP,4)
	s_waitcnt lgkmcnt(0)
	scratch_store_dword v172, v17, off
	scratch_load_dword v19, v175, off
	s_waitcnt vmcnt(5)
	ds_swizzle_b32 v17, v18 offset:swizzle(SWAP,4)
	s_waitcnt vmcnt(3)
	ds_swizzle_b32 v16, v16 offset:swizzle(SWAP,2)
	s_waitcnt lgkmcnt(1)
	scratch_store_dword v151, v17, off
	s_waitcnt lgkmcnt(0)
	scratch_store_dword v139, v16, off
	scratch_load_dword v16, v154, off
	s_nop 0
	scratch_load_dword v17, v166, off
	scratch_load_dword v51, v133, off
	;; [unrolled: 1-line block ×3, first 2 shown]
	s_waitcnt vmcnt(6)
	ds_swizzle_b32 v19, v19 offset:swizzle(SWAP,4)
	scratch_store_dword v233, v0, off
	ds_swizzle_b32 v0, v1 offset:swizzle(SWAP,1)
	s_waitcnt lgkmcnt(1)
	scratch_store_dword v175, v19, off
	scratch_load_dword v19, v177, off
	s_waitcnt vmcnt(5)
	ds_swizzle_b32 v1, v17 offset:swizzle(SWAP,2)
	s_waitcnt lgkmcnt(1)
	scratch_store_dword v230, v0, off
	ds_swizzle_b32 v0, v2 offset:swizzle(SWAP,1)
	s_waitcnt vmcnt(4)
	ds_swizzle_b32 v2, v18 offset:swizzle(SWAP,2)
	s_waitcnt lgkmcnt(1)
	scratch_store_dword v252, v0, off
	ds_swizzle_b32 v0, v16 offset:swizzle(SWAP,2)
	s_waitcnt lgkmcnt(0)
	scratch_store_dword v154, v0, off
	scratch_store_dword v166, v1, off
	;; [unrolled: 1-line block ×3, first 2 shown]
	scratch_load_dword v0, v158, off
	s_nop 0
	scratch_load_dword v52, v140, off
	scratch_load_dword v1, v170, off
	s_waitcnt vmcnt(8)
	ds_swizzle_b32 v2, v19 offset:swizzle(SWAP,2)
	scratch_store_dword v253, v3, off
	s_waitcnt lgkmcnt(0)
	scratch_store_dword v177, v2, off
	scratch_load_dword v2, v180, off
	s_nop 0
	scratch_load_dwordx4 v[40:43], off, off offset:16
	ds_swizzle_b32 v3, v4 offset:swizzle(SWAP,1)
	s_waitcnt lgkmcnt(0)
	scratch_store_dword v254, v3, off
	ds_swizzle_b32 v3, v5 offset:swizzle(SWAP,1)
	s_waitcnt vmcnt(7)
	ds_swizzle_b32 v0, v0 offset:swizzle(SWAP,2)
	s_waitcnt vmcnt(5)
	ds_swizzle_b32 v1, v1 offset:swizzle(SWAP,2)
	s_waitcnt lgkmcnt(2)
	scratch_store_dword v255, v3, off
	ds_swizzle_b32 v3, v6 offset:swizzle(SWAP,1)
	scratch_load_dwordx4 v[36:39], off, off offset:32
	s_waitcnt lgkmcnt(0)
	scratch_store_dword v65, v3, off
	ds_swizzle_b32 v3, v7 offset:swizzle(SWAP,1)
	s_waitcnt lgkmcnt(0)
	scratch_store_dword v67, v3, off
	scratch_load_dwordx4 v[32:35], off, off offset:48
	ds_swizzle_b32 v3, v8 offset:swizzle(SWAP,1)
	s_waitcnt lgkmcnt(0)
	scratch_store_dword v231, v3, off
	ds_swizzle_b32 v3, v9 offset:swizzle(SWAP,1)
	s_waitcnt lgkmcnt(0)
	scratch_store_dword v227, v3, off
	ds_swizzle_b32 v3, v10 offset:swizzle(SWAP,1)
	scratch_load_dwordx4 v[28:31], off, off offset:64
	s_waitcnt lgkmcnt(0)
	scratch_store_dword v215, v3, off
	ds_swizzle_b32 v3, v11 offset:swizzle(SWAP,1)
	s_waitcnt lgkmcnt(0)
	scratch_store_dword v221, v3, off
	scratch_load_dwordx4 v[16:19], off, off offset:80
	ds_swizzle_b32 v3, v12 offset:swizzle(SWAP,1)
	s_waitcnt lgkmcnt(0)
	scratch_store_dword v188, v3, off
	ds_swizzle_b32 v3, v13 offset:swizzle(SWAP,1)
	s_waitcnt lgkmcnt(0)
	scratch_store_dword v196, v3, off
	scratch_store_dword v158, v0, off
	;; [unrolled: 1-line block ×3, first 2 shown]
	scratch_load_dword v53, v148, off
	scratch_load_dword v54, v155, off
	;; [unrolled: 1-line block ×5, first 2 shown]
	scratch_load_dwordx4 v[24:27], off, off offset:96
	ds_swizzle_b32 v1, v14 offset:swizzle(SWAP,1)
	s_waitcnt vmcnt(23)
	ds_swizzle_b32 v0, v2 offset:swizzle(SWAP,2)
	s_waitcnt lgkmcnt(0)
	scratch_store_dword v180, v0, off
	scratch_load_dword v58, v178, off
	scratch_load_dword v59, v182, off
	ds_swizzle_b32 v0, v15 offset:swizzle(SWAP,1)
	scratch_store_dword v203, v1, off
	s_waitcnt lgkmcnt(0)
	scratch_store_dword v209, v0, off
	ds_swizzle_b32 v0, v44 offset:swizzle(SWAP,1)
	ds_swizzle_b32 v44, v52 offset:swizzle(SWAP,1)
	scratch_load_dwordx4 v[20:23], off, off offset:112
	s_waitcnt lgkmcnt(1)
	scratch_store_dword v101, v0, off
	ds_swizzle_b32 v0, v45 offset:swizzle(SWAP,1)
	s_waitcnt lgkmcnt(1)
	scratch_store_dword v140, v44, off
	s_waitcnt lgkmcnt(0)
	scratch_store_dword v103, v0, off
	scratch_load_dwordx4 v[12:15], off, off offset:128
	ds_swizzle_b32 v0, v46 offset:swizzle(SWAP,1)
	s_waitcnt lgkmcnt(0)
	scratch_store_dword v105, v0, off
	ds_swizzle_b32 v0, v47 offset:swizzle(SWAP,1)
	s_waitcnt lgkmcnt(0)
	scratch_store_dword v107, v0, off
	ds_swizzle_b32 v0, v48 offset:swizzle(SWAP,1)
	scratch_load_dwordx4 v[8:11], off, off offset:144
	s_waitcnt vmcnt(18)
	ds_swizzle_b32 v44, v53 offset:swizzle(SWAP,1)
	s_waitcnt lgkmcnt(1)
	scratch_store_dword v112, v0, off
	ds_swizzle_b32 v0, v49 offset:swizzle(SWAP,1)
	s_waitcnt vmcnt(18)
	ds_swizzle_b32 v45, v54 offset:swizzle(SWAP,1)
	s_waitcnt vmcnt(17)
	;; [unrolled: 2-line block ×4, first 2 shown]
	ds_swizzle_b32 v48, v57 offset:swizzle(SWAP,1)
	s_waitcnt lgkmcnt(4)
	scratch_store_dword v120, v0, off
	scratch_load_dwordx4 v[4:7], off, off offset:160
	ds_swizzle_b32 v0, v50 offset:swizzle(SWAP,1)
	s_waitcnt lgkmcnt(0)
	scratch_store_dword v127, v0, off
	ds_swizzle_b32 v0, v51 offset:swizzle(SWAP,1)
	s_waitcnt lgkmcnt(0)
	scratch_store_dword v133, v0, off
	scratch_load_dwordx4 v[0:3], off, off offset:176
	s_nop 0
	scratch_store_dword v148, v44, off
	scratch_store_dword v155, v45, off
	;; [unrolled: 1-line block ×5, first 2 shown]
	scratch_load_dwordx4 v[52:55], off, off
	s_waitcnt vmcnt(23)
	ds_swizzle_b32 v44, v58 offset:swizzle(SWAP,1)
	s_waitcnt vmcnt(22)
	ds_swizzle_b32 v45, v59 offset:swizzle(SWAP,1)
	scratch_load_dwordx4 v[60:63], off, off offset:192
	scratch_load_dwordx4 v[56:59], off, off offset:208
	s_waitcnt lgkmcnt(1)
	scratch_store_dword v178, v44, off
	s_waitcnt lgkmcnt(0)
	scratch_store_dword v182, v45, off
	scratch_load_dwordx4 v[48:51], off, off offset:224
	s_nop 0
	scratch_load_dwordx4 v[44:47], off, off offset:240
	; wave barrier
	s_cbranch_scc1 .LBB105_2
	s_branch .LBB105_4
.LBB105_3:
	v_mov_b32_e32 v65, v53
	v_mov_b64_e32 v[52:53], v[64:65]
.LBB105_4:
	s_load_dwordx2 s[0:1], s[0:1], 0x0
	v_lshl_or_b32 v64, s2, 14, v64
	v_mov_b32_e32 v65, 0
	s_waitcnt lgkmcnt(0)
	v_lshl_add_u64 v[64:65], v[64:65], 2, s[0:1]
	s_waitcnt vmcnt(6)
	global_store_dwordx4 v[64:65], v[52:55], off
	global_store_dwordx4 v[64:65], v[40:43], off offset:16
	global_store_dwordx4 v[64:65], v[36:39], off offset:32
	global_store_dwordx4 v[64:65], v[32:35], off offset:48
	global_store_dwordx4 v[64:65], v[28:31], off offset:64
	global_store_dwordx4 v[64:65], v[16:19], off offset:80
	global_store_dwordx4 v[64:65], v[24:27], off offset:96
	global_store_dwordx4 v[64:65], v[20:23], off offset:112
	global_store_dwordx4 v[64:65], v[12:15], off offset:128
	global_store_dwordx4 v[64:65], v[8:11], off offset:144
	global_store_dwordx4 v[64:65], v[4:7], off offset:160
	global_store_dwordx4 v[64:65], v[0:3], off offset:176
	s_waitcnt vmcnt(17)
	global_store_dwordx4 v[64:65], v[60:63], off offset:192
	s_waitcnt vmcnt(17)
	global_store_dwordx4 v[64:65], v[56:59], off offset:208
	;; [unrolled: 2-line block ×4, first 2 shown]
	s_endpgm
	.section	.rodata,"a",@progbits
	.p2align	6, 0x0
	.amdhsa_kernel _Z20warp_exchange_kernelILj256ELj64ELj64EN6common25BlockedToStripedShuffleOpEiEvPT3_j
		.amdhsa_group_segment_fixed_size 0
		.amdhsa_private_segment_fixed_size 272
		.amdhsa_kernarg_size 12
		.amdhsa_user_sgpr_count 2
		.amdhsa_user_sgpr_dispatch_ptr 0
		.amdhsa_user_sgpr_queue_ptr 0
		.amdhsa_user_sgpr_kernarg_segment_ptr 1
		.amdhsa_user_sgpr_dispatch_id 0
		.amdhsa_user_sgpr_kernarg_preload_length 0
		.amdhsa_user_sgpr_kernarg_preload_offset 0
		.amdhsa_user_sgpr_private_segment_size 0
		.amdhsa_uses_dynamic_stack 0
		.amdhsa_enable_private_segment 1
		.amdhsa_system_sgpr_workgroup_id_x 1
		.amdhsa_system_sgpr_workgroup_id_y 0
		.amdhsa_system_sgpr_workgroup_id_z 0
		.amdhsa_system_sgpr_workgroup_info 0
		.amdhsa_system_vgpr_workitem_id 0
		.amdhsa_next_free_vgpr 258
		.amdhsa_next_free_sgpr 14
		.amdhsa_accum_offset 256
		.amdhsa_reserve_vcc 1
		.amdhsa_float_round_mode_32 0
		.amdhsa_float_round_mode_16_64 0
		.amdhsa_float_denorm_mode_32 3
		.amdhsa_float_denorm_mode_16_64 3
		.amdhsa_dx10_clamp 1
		.amdhsa_ieee_mode 1
		.amdhsa_fp16_overflow 0
		.amdhsa_tg_split 0
		.amdhsa_exception_fp_ieee_invalid_op 0
		.amdhsa_exception_fp_denorm_src 0
		.amdhsa_exception_fp_ieee_div_zero 0
		.amdhsa_exception_fp_ieee_overflow 0
		.amdhsa_exception_fp_ieee_underflow 0
		.amdhsa_exception_fp_ieee_inexact 0
		.amdhsa_exception_int_div_zero 0
	.end_amdhsa_kernel
	.section	.text._Z20warp_exchange_kernelILj256ELj64ELj64EN6common25BlockedToStripedShuffleOpEiEvPT3_j,"axG",@progbits,_Z20warp_exchange_kernelILj256ELj64ELj64EN6common25BlockedToStripedShuffleOpEiEvPT3_j,comdat
.Lfunc_end105:
	.size	_Z20warp_exchange_kernelILj256ELj64ELj64EN6common25BlockedToStripedShuffleOpEiEvPT3_j, .Lfunc_end105-_Z20warp_exchange_kernelILj256ELj64ELj64EN6common25BlockedToStripedShuffleOpEiEvPT3_j
                                        ; -- End function
	.section	.AMDGPU.csdata,"",@progbits
; Kernel info:
; codeLenInByte = 8896
; NumSgprs: 20
; NumVgprs: 256
; NumAgprs: 2
; TotalNumVgprs: 258
; ScratchSize: 272
; MemoryBound: 0
; FloatMode: 240
; IeeeMode: 1
; LDSByteSize: 0 bytes/workgroup (compile time only)
; SGPRBlocks: 2
; VGPRBlocks: 32
; NumSGPRsForWavesPerEU: 20
; NumVGPRsForWavesPerEU: 258
; AccumOffset: 256
; Occupancy: 1
; WaveLimiterHint : 0
; COMPUTE_PGM_RSRC2:SCRATCH_EN: 1
; COMPUTE_PGM_RSRC2:USER_SGPR: 2
; COMPUTE_PGM_RSRC2:TRAP_HANDLER: 0
; COMPUTE_PGM_RSRC2:TGID_X_EN: 1
; COMPUTE_PGM_RSRC2:TGID_Y_EN: 0
; COMPUTE_PGM_RSRC2:TGID_Z_EN: 0
; COMPUTE_PGM_RSRC2:TIDIG_COMP_CNT: 0
; COMPUTE_PGM_RSRC3_GFX90A:ACCUM_OFFSET: 63
; COMPUTE_PGM_RSRC3_GFX90A:TG_SPLIT: 0
	.section	.text._Z20warp_exchange_kernelILj256ELj1ELj64EN6common25StripedToBlockedShuffleOpEiEvPT3_j,"axG",@progbits,_Z20warp_exchange_kernelILj256ELj1ELj64EN6common25StripedToBlockedShuffleOpEiEvPT3_j,comdat
	.protected	_Z20warp_exchange_kernelILj256ELj1ELj64EN6common25StripedToBlockedShuffleOpEiEvPT3_j ; -- Begin function _Z20warp_exchange_kernelILj256ELj1ELj64EN6common25StripedToBlockedShuffleOpEiEvPT3_j
	.globl	_Z20warp_exchange_kernelILj256ELj1ELj64EN6common25StripedToBlockedShuffleOpEiEvPT3_j
	.p2align	8
	.type	_Z20warp_exchange_kernelILj256ELj1ELj64EN6common25StripedToBlockedShuffleOpEiEvPT3_j,@function
_Z20warp_exchange_kernelILj256ELj1ELj64EN6common25StripedToBlockedShuffleOpEiEvPT3_j: ; @_Z20warp_exchange_kernelILj256ELj1ELj64EN6common25StripedToBlockedShuffleOpEiEvPT3_j
; %bb.0:
	s_load_dword s3, s[0:1], 0x8
	s_waitcnt lgkmcnt(0)
	s_cmp_eq_u32 s3, 0
	s_cbranch_scc1 .LBB106_3
; %bb.1:
	v_mbcnt_lo_u32_b32 v1, -1, 0
	v_mbcnt_hi_u32_b32 v1, -1, v1
	v_lshlrev_b32_e32 v2, 2, v1
	v_mov_b32_e32 v1, v0
.LBB106_2:                              ; =>This Inner Loop Header: Depth=1
	s_waitcnt lgkmcnt(0)
	ds_bpermute_b32 v1, v2, v1
	s_add_i32 s3, s3, -1
	s_cmp_lg_u32 s3, 0
	; wave barrier
	s_cbranch_scc1 .LBB106_2
	s_branch .LBB106_4
.LBB106_3:
	v_mov_b32_e32 v1, v0
.LBB106_4:
	s_load_dwordx2 s[0:1], s[0:1], 0x0
	v_lshl_or_b32 v2, s2, 8, v0
	v_mov_b32_e32 v3, 0
	s_waitcnt lgkmcnt(0)
	v_lshl_add_u64 v[2:3], v[2:3], 2, s[0:1]
	global_store_dword v[2:3], v1, off
	s_endpgm
	.section	.rodata,"a",@progbits
	.p2align	6, 0x0
	.amdhsa_kernel _Z20warp_exchange_kernelILj256ELj1ELj64EN6common25StripedToBlockedShuffleOpEiEvPT3_j
		.amdhsa_group_segment_fixed_size 0
		.amdhsa_private_segment_fixed_size 0
		.amdhsa_kernarg_size 12
		.amdhsa_user_sgpr_count 2
		.amdhsa_user_sgpr_dispatch_ptr 0
		.amdhsa_user_sgpr_queue_ptr 0
		.amdhsa_user_sgpr_kernarg_segment_ptr 1
		.amdhsa_user_sgpr_dispatch_id 0
		.amdhsa_user_sgpr_kernarg_preload_length 0
		.amdhsa_user_sgpr_kernarg_preload_offset 0
		.amdhsa_user_sgpr_private_segment_size 0
		.amdhsa_uses_dynamic_stack 0
		.amdhsa_enable_private_segment 0
		.amdhsa_system_sgpr_workgroup_id_x 1
		.amdhsa_system_sgpr_workgroup_id_y 0
		.amdhsa_system_sgpr_workgroup_id_z 0
		.amdhsa_system_sgpr_workgroup_info 0
		.amdhsa_system_vgpr_workitem_id 0
		.amdhsa_next_free_vgpr 4
		.amdhsa_next_free_sgpr 4
		.amdhsa_accum_offset 4
		.amdhsa_reserve_vcc 0
		.amdhsa_float_round_mode_32 0
		.amdhsa_float_round_mode_16_64 0
		.amdhsa_float_denorm_mode_32 3
		.amdhsa_float_denorm_mode_16_64 3
		.amdhsa_dx10_clamp 1
		.amdhsa_ieee_mode 1
		.amdhsa_fp16_overflow 0
		.amdhsa_tg_split 0
		.amdhsa_exception_fp_ieee_invalid_op 0
		.amdhsa_exception_fp_denorm_src 0
		.amdhsa_exception_fp_ieee_div_zero 0
		.amdhsa_exception_fp_ieee_overflow 0
		.amdhsa_exception_fp_ieee_underflow 0
		.amdhsa_exception_fp_ieee_inexact 0
		.amdhsa_exception_int_div_zero 0
	.end_amdhsa_kernel
	.section	.text._Z20warp_exchange_kernelILj256ELj1ELj64EN6common25StripedToBlockedShuffleOpEiEvPT3_j,"axG",@progbits,_Z20warp_exchange_kernelILj256ELj1ELj64EN6common25StripedToBlockedShuffleOpEiEvPT3_j,comdat
.Lfunc_end106:
	.size	_Z20warp_exchange_kernelILj256ELj1ELj64EN6common25StripedToBlockedShuffleOpEiEvPT3_j, .Lfunc_end106-_Z20warp_exchange_kernelILj256ELj1ELj64EN6common25StripedToBlockedShuffleOpEiEvPT3_j
                                        ; -- End function
	.section	.AMDGPU.csdata,"",@progbits
; Kernel info:
; codeLenInByte = 120
; NumSgprs: 10
; NumVgprs: 4
; NumAgprs: 0
; TotalNumVgprs: 4
; ScratchSize: 0
; MemoryBound: 0
; FloatMode: 240
; IeeeMode: 1
; LDSByteSize: 0 bytes/workgroup (compile time only)
; SGPRBlocks: 1
; VGPRBlocks: 0
; NumSGPRsForWavesPerEU: 10
; NumVGPRsForWavesPerEU: 4
; AccumOffset: 4
; Occupancy: 8
; WaveLimiterHint : 0
; COMPUTE_PGM_RSRC2:SCRATCH_EN: 0
; COMPUTE_PGM_RSRC2:USER_SGPR: 2
; COMPUTE_PGM_RSRC2:TRAP_HANDLER: 0
; COMPUTE_PGM_RSRC2:TGID_X_EN: 1
; COMPUTE_PGM_RSRC2:TGID_Y_EN: 0
; COMPUTE_PGM_RSRC2:TGID_Z_EN: 0
; COMPUTE_PGM_RSRC2:TIDIG_COMP_CNT: 0
; COMPUTE_PGM_RSRC3_GFX90A:ACCUM_OFFSET: 0
; COMPUTE_PGM_RSRC3_GFX90A:TG_SPLIT: 0
	.section	.text._Z20warp_exchange_kernelILj256ELj4ELj64EN6common25StripedToBlockedShuffleOpEiEvPT3_j,"axG",@progbits,_Z20warp_exchange_kernelILj256ELj4ELj64EN6common25StripedToBlockedShuffleOpEiEvPT3_j,comdat
	.protected	_Z20warp_exchange_kernelILj256ELj4ELj64EN6common25StripedToBlockedShuffleOpEiEvPT3_j ; -- Begin function _Z20warp_exchange_kernelILj256ELj4ELj64EN6common25StripedToBlockedShuffleOpEiEvPT3_j
	.globl	_Z20warp_exchange_kernelILj256ELj4ELj64EN6common25StripedToBlockedShuffleOpEiEvPT3_j
	.p2align	8
	.type	_Z20warp_exchange_kernelILj256ELj4ELj64EN6common25StripedToBlockedShuffleOpEiEvPT3_j,@function
_Z20warp_exchange_kernelILj256ELj4ELj64EN6common25StripedToBlockedShuffleOpEiEvPT3_j: ; @_Z20warp_exchange_kernelILj256ELj4ELj64EN6common25StripedToBlockedShuffleOpEiEvPT3_j
; %bb.0:
	s_load_dword s3, s[0:1], 0x8
	v_lshlrev_b32_e32 v0, 2, v0
	v_or_b32_e32 v1, 1, v0
	v_or_b32_e32 v2, 2, v0
	;; [unrolled: 1-line block ×3, first 2 shown]
	s_waitcnt lgkmcnt(0)
	s_cmp_eq_u32 s3, 0
	s_cbranch_scc1 .LBB107_4
; %bb.1:
	v_mbcnt_lo_u32_b32 v4, -1, 0
	v_mbcnt_hi_u32_b32 v4, -1, v4
	v_lshlrev_b32_e32 v5, 2, v4
	v_and_b32_e32 v6, 64, v4
	v_and_or_b32 v5, v5, 60, v6
	v_lshrrev_b32_e32 v4, 4, v4
	v_lshlrev_b32_e32 v5, 2, v5
	v_cmp_eq_u32_e32 vcc, 3, v4
	v_cmp_eq_u32_e64 s[6:7], 2, v4
	v_cmp_eq_u32_e64 s[4:5], 1, v4
	v_or_b32_e32 v6, 4, v5
	v_or_b32_e32 v7, 8, v5
	;; [unrolled: 1-line block ×3, first 2 shown]
	v_mov_b32_e32 v4, v0
.LBB107_2:                              ; =>This Inner Loop Header: Depth=1
	v_mov_b32_e32 v9, v1
	v_mov_b32_e32 v10, v4
	ds_bpermute_b32 v1, v5, v4
	ds_bpermute_b32 v4, v5, v9
	;; [unrolled: 1-line block ×6, first 2 shown]
	s_waitcnt lgkmcnt(4)
	v_cndmask_b32_e64 v1, v1, v4, s[4:5]
	s_waitcnt lgkmcnt(3)
	v_cndmask_b32_e64 v1, v1, v11, s[6:7]
	ds_bpermute_b32 v4, v5, v3
	ds_bpermute_b32 v11, v6, v10
	;; [unrolled: 1-line block ×5, first 2 shown]
	s_waitcnt lgkmcnt(4)
	v_cndmask_b32_e32 v4, v1, v4, vcc
	s_waitcnt lgkmcnt(3)
	v_cndmask_b32_e64 v1, v11, v12, s[4:5]
	v_cndmask_b32_e64 v1, v1, v13, s[6:7]
	ds_bpermute_b32 v9, v8, v9
	v_cndmask_b32_e32 v1, v1, v14, vcc
	ds_bpermute_b32 v12, v7, v2
	ds_bpermute_b32 v14, v8, v2
	;; [unrolled: 1-line block ×4, first 2 shown]
	s_waitcnt lgkmcnt(6)
	v_cndmask_b32_e64 v11, v15, v16, s[4:5]
	s_waitcnt lgkmcnt(4)
	v_cndmask_b32_e64 v9, v10, v9, s[4:5]
	;; [unrolled: 2-line block ×4, first 2 shown]
	s_add_i32 s3, s3, -1
	s_waitcnt lgkmcnt(1)
	v_cndmask_b32_e32 v2, v2, v13, vcc
	s_waitcnt lgkmcnt(0)
	v_cndmask_b32_e32 v3, v9, v3, vcc
	s_cmp_lg_u32 s3, 0
	; wave barrier
	s_cbranch_scc1 .LBB107_2
; %bb.3:
	v_mov_b32_e32 v5, v1
	v_mov_b32_e32 v6, v2
	;; [unrolled: 1-line block ×3, first 2 shown]
	s_branch .LBB107_5
.LBB107_4:
	v_mov_b64_e32 v[6:7], v[2:3]
	v_mov_b64_e32 v[4:5], v[0:1]
.LBB107_5:
	s_load_dwordx2 s[0:1], s[0:1], 0x0
	v_lshl_or_b32 v0, s2, 10, v0
	v_mov_b32_e32 v1, 0
	s_waitcnt lgkmcnt(0)
	v_lshl_add_u64 v[0:1], v[0:1], 2, s[0:1]
	global_store_dwordx4 v[0:1], v[4:7], off
	s_endpgm
	.section	.rodata,"a",@progbits
	.p2align	6, 0x0
	.amdhsa_kernel _Z20warp_exchange_kernelILj256ELj4ELj64EN6common25StripedToBlockedShuffleOpEiEvPT3_j
		.amdhsa_group_segment_fixed_size 0
		.amdhsa_private_segment_fixed_size 0
		.amdhsa_kernarg_size 12
		.amdhsa_user_sgpr_count 2
		.amdhsa_user_sgpr_dispatch_ptr 0
		.amdhsa_user_sgpr_queue_ptr 0
		.amdhsa_user_sgpr_kernarg_segment_ptr 1
		.amdhsa_user_sgpr_dispatch_id 0
		.amdhsa_user_sgpr_kernarg_preload_length 0
		.amdhsa_user_sgpr_kernarg_preload_offset 0
		.amdhsa_user_sgpr_private_segment_size 0
		.amdhsa_uses_dynamic_stack 0
		.amdhsa_enable_private_segment 0
		.amdhsa_system_sgpr_workgroup_id_x 1
		.amdhsa_system_sgpr_workgroup_id_y 0
		.amdhsa_system_sgpr_workgroup_id_z 0
		.amdhsa_system_sgpr_workgroup_info 0
		.amdhsa_system_vgpr_workitem_id 0
		.amdhsa_next_free_vgpr 17
		.amdhsa_next_free_sgpr 8
		.amdhsa_accum_offset 20
		.amdhsa_reserve_vcc 1
		.amdhsa_float_round_mode_32 0
		.amdhsa_float_round_mode_16_64 0
		.amdhsa_float_denorm_mode_32 3
		.amdhsa_float_denorm_mode_16_64 3
		.amdhsa_dx10_clamp 1
		.amdhsa_ieee_mode 1
		.amdhsa_fp16_overflow 0
		.amdhsa_tg_split 0
		.amdhsa_exception_fp_ieee_invalid_op 0
		.amdhsa_exception_fp_denorm_src 0
		.amdhsa_exception_fp_ieee_div_zero 0
		.amdhsa_exception_fp_ieee_overflow 0
		.amdhsa_exception_fp_ieee_underflow 0
		.amdhsa_exception_fp_ieee_inexact 0
		.amdhsa_exception_int_div_zero 0
	.end_amdhsa_kernel
	.section	.text._Z20warp_exchange_kernelILj256ELj4ELj64EN6common25StripedToBlockedShuffleOpEiEvPT3_j,"axG",@progbits,_Z20warp_exchange_kernelILj256ELj4ELj64EN6common25StripedToBlockedShuffleOpEiEvPT3_j,comdat
.Lfunc_end107:
	.size	_Z20warp_exchange_kernelILj256ELj4ELj64EN6common25StripedToBlockedShuffleOpEiEvPT3_j, .Lfunc_end107-_Z20warp_exchange_kernelILj256ELj4ELj64EN6common25StripedToBlockedShuffleOpEiEvPT3_j
                                        ; -- End function
	.section	.AMDGPU.csdata,"",@progbits
; Kernel info:
; codeLenInByte = 448
; NumSgprs: 14
; NumVgprs: 17
; NumAgprs: 0
; TotalNumVgprs: 17
; ScratchSize: 0
; MemoryBound: 0
; FloatMode: 240
; IeeeMode: 1
; LDSByteSize: 0 bytes/workgroup (compile time only)
; SGPRBlocks: 1
; VGPRBlocks: 2
; NumSGPRsForWavesPerEU: 14
; NumVGPRsForWavesPerEU: 17
; AccumOffset: 20
; Occupancy: 8
; WaveLimiterHint : 0
; COMPUTE_PGM_RSRC2:SCRATCH_EN: 0
; COMPUTE_PGM_RSRC2:USER_SGPR: 2
; COMPUTE_PGM_RSRC2:TRAP_HANDLER: 0
; COMPUTE_PGM_RSRC2:TGID_X_EN: 1
; COMPUTE_PGM_RSRC2:TGID_Y_EN: 0
; COMPUTE_PGM_RSRC2:TGID_Z_EN: 0
; COMPUTE_PGM_RSRC2:TIDIG_COMP_CNT: 0
; COMPUTE_PGM_RSRC3_GFX90A:ACCUM_OFFSET: 4
; COMPUTE_PGM_RSRC3_GFX90A:TG_SPLIT: 0
	.section	.text._Z20warp_exchange_kernelILj256ELj16ELj64EN6common25StripedToBlockedShuffleOpEiEvPT3_j,"axG",@progbits,_Z20warp_exchange_kernelILj256ELj16ELj64EN6common25StripedToBlockedShuffleOpEiEvPT3_j,comdat
	.protected	_Z20warp_exchange_kernelILj256ELj16ELj64EN6common25StripedToBlockedShuffleOpEiEvPT3_j ; -- Begin function _Z20warp_exchange_kernelILj256ELj16ELj64EN6common25StripedToBlockedShuffleOpEiEvPT3_j
	.globl	_Z20warp_exchange_kernelILj256ELj16ELj64EN6common25StripedToBlockedShuffleOpEiEvPT3_j
	.p2align	8
	.type	_Z20warp_exchange_kernelILj256ELj16ELj64EN6common25StripedToBlockedShuffleOpEiEvPT3_j,@function
_Z20warp_exchange_kernelILj256ELj16ELj64EN6common25StripedToBlockedShuffleOpEiEvPT3_j: ; @_Z20warp_exchange_kernelILj256ELj16ELj64EN6common25StripedToBlockedShuffleOpEiEvPT3_j
; %bb.0:
	s_load_dword s3, s[0:1], 0x8
	v_lshlrev_b32_e32 v16, 4, v0
	v_or_b32_e32 v17, 1, v16
	v_or_b32_e32 v18, 2, v16
	;; [unrolled: 1-line block ×14, first 2 shown]
	s_waitcnt lgkmcnt(0)
	s_cmp_lg_u32 s3, 0
	v_or_b32_e32 v25, 15, v16
	s_cbranch_scc0 .LBB108_6
; %bb.1:
	v_mbcnt_lo_u32_b32 v0, -1, 0
	v_mbcnt_hi_u32_b32 v0, -1, v0
	v_and_b32_e32 v1, 64, v0
	v_add_u32_e32 v2, 60, v0
	v_and_or_b32 v2, v2, 63, v1
	v_lshlrev_b32_e32 v32, 2, v2
	v_add_u32_e32 v2, 56, v0
	v_and_or_b32 v2, v2, 63, v1
	v_lshlrev_b32_e32 v33, 2, v2
	;; [unrolled: 3-line block ×7, first 2 shown]
	v_lshlrev_b32_e32 v2, 2, v0
	v_xor_b32_e32 v39, 0x80, v2
	v_add_u32_e32 v2, 28, v0
	v_and_or_b32 v2, v2, 63, v1
	v_lshlrev_b32_e32 v40, 2, v2
	v_add_u32_e32 v2, 24, v0
	v_and_or_b32 v2, v2, 63, v1
	v_lshlrev_b32_e32 v41, 2, v2
	;; [unrolled: 3-line block ×7, first 2 shown]
	v_lshrrev_b32_e32 v1, 2, v0
	v_add_u32_e32 v4, 14, v1
	v_and_b32_e32 v47, 15, v4
	v_add_u32_e32 v4, 13, v1
	v_and_b32_e32 v48, 15, v4
	v_add_u32_e32 v4, 12, v1
	v_bfe_u32 v2, v0, 2, 4
	v_and_b32_e32 v49, 15, v4
	v_add_u32_e32 v4, 11, v1
	v_add_u32_e32 v3, -1, v1
	v_and_b32_e32 v50, 15, v4
	v_add_u32_e32 v4, 10, v1
	v_add_u32_e32 v1, 9, v1
	v_xor_b32_e32 v53, 8, v2
	v_and_b32_e32 v52, 15, v1
	v_add_u32_e32 v1, -1, v53
	v_and_b32_e32 v54, 15, v1
	v_add_u32_e32 v1, 14, v53
	v_and_b32_e32 v55, 15, v1
	v_add_u32_e32 v1, 13, v53
	;; [unrolled: 2-line block ×3, first 2 shown]
	v_and_b32_e32 v61, 3, v0
	v_and_b32_e32 v57, 15, v1
	v_add_u32_e32 v1, 11, v53
	v_add_u32_e32 v0, -1, v0
	v_xor_b32_e32 v63, 2, v61
	v_and_b32_e32 v58, 15, v1
	v_add_u32_e32 v1, 10, v53
	v_and_b32_e32 v62, 3, v0
	v_add_u32_e32 v0, 3, v63
	v_and_b32_e32 v3, 15, v3
	v_and_b32_e32 v59, 15, v1
	v_add_u32_e32 v1, 9, v53
	v_and_b32_e32 v64, 3, v0
	v_and_b32_e32 v51, 15, v4
	;; [unrolled: 1-line block ×3, first 2 shown]
	v_or_b32_e32 v65, 4, v0
	v_or_b32_e32 v66, 12, v0
	v_cmp_eq_u32_e32 vcc, 1, v2
	v_cmp_eq_u32_e64 s[76:77], 2, v2
	v_cmp_eq_u32_e64 s[4:5], 3, v2
	;; [unrolled: 1-line block ×36, first 2 shown]
	v_mov_b32_e32 v3, v25
	v_mov_b32_e32 v2, v24
	;; [unrolled: 1-line block ×16, first 2 shown]
	v_or_b32_e32 v67, 4, v61
	v_or_b32_e32 v68, 8, v61
	;; [unrolled: 1-line block ×10, first 2 shown]
                                        ; implicit-def: $vgpr88
                                        ; implicit-def: $vgpr87
                                        ; implicit-def: $vgpr86
                                        ; implicit-def: $vgpr85
                                        ; implicit-def: $vgpr84
                                        ; implicit-def: $vgpr83
                                        ; implicit-def: $vgpr82
                                        ; implicit-def: $vgpr81
                                        ; implicit-def: $vgpr80
                                        ; implicit-def: $vgpr79
                                        ; implicit-def: $vgpr78
                                        ; implicit-def: $vgpr77
.LBB108_2:                              ; =>This Inner Loop Header: Depth=1
	ds_bpermute_b32 v99, v32, v13
	ds_bpermute_b32 v97, v33, v14
	;; [unrolled: 1-line block ×4, first 2 shown]
	v_cmp_eq_u32_e64 s[78:79], 0, v47
	s_waitcnt lgkmcnt(3)
	v_cndmask_b32_e64 v91, v12, v99, s[62:63]
	ds_bpermute_b32 v101, v43, v0
	s_waitcnt lgkmcnt(3)
	v_cndmask_b32_e64 v92, v91, v97, s[78:79]
	ds_bpermute_b32 v91, v36, v9
	v_cmp_eq_u32_e64 s[78:79], 0, v48
	ds_bpermute_b32 v102, v44, v1
	ds_bpermute_b32 v103, v45, v2
	s_waitcnt lgkmcnt(5)
	v_cndmask_b32_e64 v93, v92, v90, s[78:79]
	ds_bpermute_b32 v92, v37, v10
	v_cmp_eq_u32_e64 s[78:79], 0, v49
	ds_bpermute_b32 v104, v46, v3
	v_cndmask_b32_e64 v108, v1, v12, s[24:25]
	s_waitcnt lgkmcnt(6)
	v_cndmask_b32_e64 v94, v93, v89, s[78:79]
	ds_bpermute_b32 v93, v38, v11
	v_cmp_eq_u32_e64 s[78:79], 0, v50
	v_cndmask_b32_e64 v11, v11, v12, s[12:13]
	v_cndmask_b32_e64 v105, v8, v12, s[6:7]
	s_waitcnt lgkmcnt(5)
	v_cndmask_b32_e64 v95, v94, v91, s[78:79]
	ds_bpermute_b32 v94, v39, v4
	v_cmp_eq_u32_e64 s[78:79], 0, v51
	v_cndmask_b32_e64 v106, v4, v12, s[14:15]
	v_cndmask_b32_e64 v11, v11, v99, s[48:49]
	s_waitcnt lgkmcnt(3)
	v_cndmask_b32_e64 v96, v95, v92, s[78:79]
	ds_bpermute_b32 v95, v40, v5
	v_cmp_eq_u32_e64 s[78:79], 0, v52
	v_cndmask_b32_e32 v13, v13, v12, vcc
	v_cndmask_b32_e64 v14, v14, v12, s[76:77]
	s_waitcnt lgkmcnt(2)
	v_cndmask_b32_e64 v98, v96, v93, s[78:79]
	ds_bpermute_b32 v96, v41, v6
	v_cmp_eq_u32_e64 s[78:79], 0, v53
	v_cndmask_b32_e64 v15, v15, v12, s[4:5]
	v_cndmask_b32_e64 v9, v9, v12, s[8:9]
	s_waitcnt lgkmcnt(2)
	v_cndmask_b32_e64 v100, v98, v94, s[78:79]
	ds_bpermute_b32 v98, v42, v7
	v_cmp_eq_u32_e64 s[78:79], 0, v54
	v_cndmask_b32_e64 v10, v10, v12, s[10:11]
	v_cndmask_b32_e64 v5, v5, v12, s[16:17]
	s_waitcnt lgkmcnt(2)
	v_cndmask_b32_e64 v100, v100, v95, s[78:79]
	v_cmp_eq_u32_e64 s[78:79], 0, v55
	v_cndmask_b32_e64 v6, v6, v12, s[18:19]
	v_cndmask_b32_e64 v7, v7, v12, s[20:21]
	s_waitcnt lgkmcnt(1)
	v_cndmask_b32_e64 v100, v100, v96, s[78:79]
	;; [unrolled: 5-line block ×3, first 2 shown]
	v_cmp_eq_u32_e64 s[78:79], 0, v57
	v_cndmask_b32_e64 v3, v3, v12, s[28:29]
	v_cndmask_b32_e64 v106, v106, v99, s[46:47]
	v_cndmask_b32_e64 v100, v100, v101, s[78:79]
	v_cmp_eq_u32_e64 s[78:79], 0, v58
	v_cndmask_b32_e64 v105, v105, v99, s[54:55]
	v_cndmask_b32_e64 v3, v3, v99, s[30:31]
	v_cndmask_b32_e64 v100, v100, v102, s[78:79]
	;; [unrolled: 4-line block ×10, first 2 shown]
	v_cmp_eq_u32_e64 s[78:79], 11, v47
	v_cndmask_b32_e64 v10, v10, v97, s[74:75]
	s_add_i32 s3, s3, -1
	v_cndmask_b32_e64 v7, v7, v97, s[78:79]
	v_cmp_eq_u32_e64 s[78:79], 12, v47
	s_cmp_lg_u32 s3, 0
	s_nop 0
	v_cndmask_b32_e64 v106, v107, v97, s[78:79]
	v_cmp_eq_u32_e64 s[78:79], 13, v47
	; wave barrier
	s_nop 1
	v_cndmask_b32_e64 v12, v12, v97, s[78:79]
	v_cmp_eq_u32_e64 s[78:79], 14, v47
	s_nop 1
	v_cndmask_b32_e64 v2, v2, v97, s[78:79]
	v_cmp_eq_u32_e64 s[78:79], 15, v47
	;; [unrolled: 3-line block ×184, first 2 shown]
	ds_bpermute_b32 v3, v32, v3
	s_nop 0
	v_cndmask_b32_e64 v2, v2, v104, s[78:79]
	v_cmp_eq_u32_e64 s[78:79], 13, v60
	ds_bpermute_b32 v2, v33, v2
	s_waitcnt lgkmcnt(1)
	v_mov_b32_dpp v3, v3 quad_perm:[1,2,3,0] row_mask:0xf bank_mask:0xf
	v_cndmask_b32_e64 v12, v12, v104, s[78:79]
	v_cmp_eq_u32_e64 s[78:79], 12, v60
	ds_bpermute_b32 v12, v34, v12
	s_waitcnt lgkmcnt(1)
	v_mov_b32_dpp v2, v2 quad_perm:[1,2,3,0] row_mask:0xf bank_mask:0xf
	;; [unrolled: 5-line block ×12, first 2 shown]
	v_cndmask_b32_e64 v14, v14, v104, s[78:79]
	v_cmp_eq_u32_e64 s[78:79], 1, v60
	ds_bpermute_b32 v14, v45, v14
	s_nop 0
	v_cndmask_b32_e64 v13, v13, v104, s[78:79]
	v_cmp_eq_u32_e64 s[78:79], 1, v61
	ds_bpermute_b32 v13, v46, v13
	s_nop 0
	v_cndmask_b32_e64 v88, v88, v100, s[78:79]
	v_cmp_eq_u32_e64 s[78:79], 2, v61
	s_nop 1
	v_cndmask_b32_e64 v87, v87, v100, s[78:79]
	v_cmp_eq_u32_e64 s[78:79], 3, v61
	;; [unrolled: 3-line block ×14, first 2 shown]
	s_waitcnt lgkmcnt(0)
	s_nop 0
	v_cndmask_b32_e64 v77, v77, v13, s[78:79]
	v_cmp_eq_u32_e64 s[78:79], 14, v67
	s_nop 1
	v_cndmask_b32_e64 v78, v78, v13, s[78:79]
	v_cmp_eq_u32_e64 s[78:79], 13, v67
	;; [unrolled: 3-line block ×226, first 2 shown]
	s_nop 0
	v_mov_b32_dpp v2, v78 quad_perm:[2,3,0,1] row_mask:0xf bank_mask:0xf
	v_cndmask_b32_e64 v79, v14, v3, s[78:79]
	v_cmp_eq_u32_e64 s[78:79], 12, v66
	s_nop 1
	v_cndmask_b32_e64 v0, v0, v3, s[78:79]
	v_cmp_eq_u32_e64 s[78:79], 11, v66
	s_nop 1
	;; [unrolled: 3-line block ×4, first 2 shown]
	v_mov_b32_dpp v6, v81 quad_perm:[2,3,0,1] row_mask:0xf bank_mask:0xf
	v_cndmask_b32_e64 v82, v15, v3, s[78:79]
	v_cmp_eq_u32_e64 s[78:79], 8, v66
	s_nop 1
	v_cndmask_b32_e64 v4, v4, v3, s[78:79]
	v_cmp_eq_u32_e64 s[78:79], 7, v66
	s_nop 1
	;; [unrolled: 3-line block ×4, first 2 shown]
	v_mov_b32_dpp v10, v84 quad_perm:[2,3,0,1] row_mask:0xf bank_mask:0xf
	v_cndmask_b32_e64 v85, v11, v3, s[78:79]
	v_cmp_eq_u32_e64 s[78:79], 4, v66
	v_mov_b32_dpp v11, v83 quad_perm:[3,0,1,2] row_mask:0xf bank_mask:0xf
	s_nop 0
	v_cndmask_b32_e64 v8, v8, v3, s[78:79]
	v_cmp_eq_u32_e64 s[78:79], 3, v66
	s_nop 1
	v_cndmask_b32_e64 v86, v9, v3, s[78:79]
	v_cmp_eq_u32_e64 s[78:79], 2, v66
	v_mov_b32_dpp v9, v85 quad_perm:[1,2,3,0] row_mask:0xf bank_mask:0xf
	v_mov_b32_dpp v15, v86 quad_perm:[3,0,1,2] row_mask:0xf bank_mask:0xf
	v_cndmask_b32_e64 v87, v7, v3, s[78:79]
	v_cmp_eq_u32_e64 s[78:79], 1, v66
	v_mov_b32_dpp v7, v80 quad_perm:[3,0,1,2] row_mask:0xf bank_mask:0xf
	v_mov_b32_dpp v14, v87 quad_perm:[2,3,0,1] row_mask:0xf bank_mask:0xf
	;; [unrolled: 4-line block ×3, first 2 shown]
	v_cndmask_b32_e64 v12, v1, v3, s[78:79]
	v_mov_b32_dpp v1, v79 quad_perm:[1,2,3,0] row_mask:0xf bank_mask:0xf
	v_mov_b32_dpp v3, v77 quad_perm:[3,0,1,2] row_mask:0xf bank_mask:0xf
	s_cbranch_scc1 .LBB108_2
; %bb.3:
	s_branch .LBB108_5
.LBB108_4:
	v_mov_b64_e32 v[14:15], v[18:19]
	v_mov_b64_e32 v[10:11], v[20:21]
	;; [unrolled: 1-line block ×5, first 2 shown]
	v_mov_b32_e32 v8, v26
	v_mov_b32_e32 v9, v27
	;; [unrolled: 1-line block ×6, first 2 shown]
.LBB108_5:
	s_load_dwordx2 s[0:1], s[0:1], 0x0
	v_lshl_or_b32 v16, s2, 12, v16
	v_mov_b32_e32 v17, 0
	s_waitcnt lgkmcnt(0)
	v_lshl_add_u64 v[16:17], v[16:17], 2, s[0:1]
	global_store_dwordx4 v[16:17], v[12:15], off
	global_store_dwordx4 v[16:17], v[8:11], off offset:16
	global_store_dwordx4 v[16:17], v[4:7], off offset:32
	global_store_dwordx4 v[16:17], v[0:3], off offset:48
	s_endpgm
.LBB108_6:
                                        ; implicit-def: $vgpr1
                                        ; implicit-def: $vgpr5
                                        ; implicit-def: $vgpr9
                                        ; implicit-def: $vgpr12_vgpr13
	s_cbranch_execnz .LBB108_4
	s_branch .LBB108_5
	.section	.rodata,"a",@progbits
	.p2align	6, 0x0
	.amdhsa_kernel _Z20warp_exchange_kernelILj256ELj16ELj64EN6common25StripedToBlockedShuffleOpEiEvPT3_j
		.amdhsa_group_segment_fixed_size 0
		.amdhsa_private_segment_fixed_size 0
		.amdhsa_kernarg_size 12
		.amdhsa_user_sgpr_count 2
		.amdhsa_user_sgpr_dispatch_ptr 0
		.amdhsa_user_sgpr_queue_ptr 0
		.amdhsa_user_sgpr_kernarg_segment_ptr 1
		.amdhsa_user_sgpr_dispatch_id 0
		.amdhsa_user_sgpr_kernarg_preload_length 0
		.amdhsa_user_sgpr_kernarg_preload_offset 0
		.amdhsa_user_sgpr_private_segment_size 0
		.amdhsa_uses_dynamic_stack 0
		.amdhsa_enable_private_segment 0
		.amdhsa_system_sgpr_workgroup_id_x 1
		.amdhsa_system_sgpr_workgroup_id_y 0
		.amdhsa_system_sgpr_workgroup_id_z 0
		.amdhsa_system_sgpr_workgroup_info 0
		.amdhsa_system_vgpr_workitem_id 0
		.amdhsa_next_free_vgpr 109
		.amdhsa_next_free_sgpr 80
		.amdhsa_accum_offset 112
		.amdhsa_reserve_vcc 1
		.amdhsa_float_round_mode_32 0
		.amdhsa_float_round_mode_16_64 0
		.amdhsa_float_denorm_mode_32 3
		.amdhsa_float_denorm_mode_16_64 3
		.amdhsa_dx10_clamp 1
		.amdhsa_ieee_mode 1
		.amdhsa_fp16_overflow 0
		.amdhsa_tg_split 0
		.amdhsa_exception_fp_ieee_invalid_op 0
		.amdhsa_exception_fp_denorm_src 0
		.amdhsa_exception_fp_ieee_div_zero 0
		.amdhsa_exception_fp_ieee_overflow 0
		.amdhsa_exception_fp_ieee_underflow 0
		.amdhsa_exception_fp_ieee_inexact 0
		.amdhsa_exception_int_div_zero 0
	.end_amdhsa_kernel
	.section	.text._Z20warp_exchange_kernelILj256ELj16ELj64EN6common25StripedToBlockedShuffleOpEiEvPT3_j,"axG",@progbits,_Z20warp_exchange_kernelILj256ELj16ELj64EN6common25StripedToBlockedShuffleOpEiEvPT3_j,comdat
.Lfunc_end108:
	.size	_Z20warp_exchange_kernelILj256ELj16ELj64EN6common25StripedToBlockedShuffleOpEiEvPT3_j, .Lfunc_end108-_Z20warp_exchange_kernelILj256ELj16ELj64EN6common25StripedToBlockedShuffleOpEiEvPT3_j
                                        ; -- End function
	.section	.AMDGPU.csdata,"",@progbits
; Kernel info:
; codeLenInByte = 11188
; NumSgprs: 86
; NumVgprs: 109
; NumAgprs: 0
; TotalNumVgprs: 109
; ScratchSize: 0
; MemoryBound: 0
; FloatMode: 240
; IeeeMode: 1
; LDSByteSize: 0 bytes/workgroup (compile time only)
; SGPRBlocks: 10
; VGPRBlocks: 13
; NumSGPRsForWavesPerEU: 86
; NumVGPRsForWavesPerEU: 109
; AccumOffset: 112
; Occupancy: 4
; WaveLimiterHint : 0
; COMPUTE_PGM_RSRC2:SCRATCH_EN: 0
; COMPUTE_PGM_RSRC2:USER_SGPR: 2
; COMPUTE_PGM_RSRC2:TRAP_HANDLER: 0
; COMPUTE_PGM_RSRC2:TGID_X_EN: 1
; COMPUTE_PGM_RSRC2:TGID_Y_EN: 0
; COMPUTE_PGM_RSRC2:TGID_Z_EN: 0
; COMPUTE_PGM_RSRC2:TIDIG_COMP_CNT: 0
; COMPUTE_PGM_RSRC3_GFX90A:ACCUM_OFFSET: 27
; COMPUTE_PGM_RSRC3_GFX90A:TG_SPLIT: 0
	.section	.text._Z20warp_exchange_kernelILj256ELj64ELj64EN6common25StripedToBlockedShuffleOpEiEvPT3_j,"axG",@progbits,_Z20warp_exchange_kernelILj256ELj64ELj64EN6common25StripedToBlockedShuffleOpEiEvPT3_j,comdat
	.protected	_Z20warp_exchange_kernelILj256ELj64ELj64EN6common25StripedToBlockedShuffleOpEiEvPT3_j ; -- Begin function _Z20warp_exchange_kernelILj256ELj64ELj64EN6common25StripedToBlockedShuffleOpEiEvPT3_j
	.globl	_Z20warp_exchange_kernelILj256ELj64ELj64EN6common25StripedToBlockedShuffleOpEiEvPT3_j
	.p2align	8
	.type	_Z20warp_exchange_kernelILj256ELj64ELj64EN6common25StripedToBlockedShuffleOpEiEvPT3_j,@function
_Z20warp_exchange_kernelILj256ELj64ELj64EN6common25StripedToBlockedShuffleOpEiEvPT3_j: ; @_Z20warp_exchange_kernelILj256ELj64ELj64EN6common25StripedToBlockedShuffleOpEiEvPT3_j
; %bb.0:
	s_load_dword s3, s[0:1], 0x8
	v_lshlrev_b32_e32 v64, 6, v0
	v_or_b32_e32 v53, 1, v64
	v_or_b32_e32 v55, 3, v64
	;; [unrolled: 1-line block ×62, first 2 shown]
	s_waitcnt lgkmcnt(0)
	s_cmp_eq_u32 s3, 0
	v_or_b32_e32 v46, 62, v64
	s_cbranch_scc1 .LBB109_3
; %bb.1:
	v_mbcnt_lo_u32_b32 v52, -1, 0
	v_mbcnt_hi_u32_b32 v52, -1, v52
	v_and_b32_e32 v65, 32, v52
	v_lshlrev_b32_e32 v66, 2, v65
	v_xor_b32_e32 v66, 0x80, v66
	v_add_u32_e32 v66, 0, v66
	v_and_b32_e32 v68, 64, v52
	v_accvgpr_write_b32 a0, v66
	v_xor_b32_e32 v66, 32, v52
	v_add_u32_e32 v68, 64, v68
	v_cmp_lt_i32_e32 vcc, v66, v68
	v_and_b32_e32 v76, 16, v52
	v_and_b32_e32 v86, 8, v52
	;; [unrolled: 1-line block ×3, first 2 shown]
	v_mov_b32_e32 v67, 0
	v_cndmask_b32_e32 v66, v52, v66, vcc
	v_mov_b32_e32 v102, 0x84
	v_cmp_eq_u32_e32 vcc, 0, v65
	v_lshlrev_b32_e32 v75, 2, v76
	v_lshlrev_b32_e32 v85, 2, v86
	;; [unrolled: 1-line block ×3, first 2 shown]
	v_cndmask_b32_e32 v65, 4, v102, vcc
	v_xad_u32 v75, v75, 64, v67
	v_xad_u32 v85, v85, 32, v67
	;; [unrolled: 1-line block ×3, first 2 shown]
	v_and_b32_e32 v67, 2, v52
	v_and_b32_e32 v52, 1, v52
	v_accvgpr_write_b32 a1, v65
	v_mov_b32_e32 v65, 0x88
	v_mov_b32_e32 v103, 0x8c
	;; [unrolled: 1-line block ×14, first 2 shown]
	v_cmp_eq_u32_e64 s[12:13], 0, v76
	v_mov_b32_e32 v101, 0x80
	v_cmp_eq_u32_e64 s[4:5], 0, v86
	v_cmp_eq_u32_e64 s[6:7], 0, v95
	v_cmp_eq_u32_e64 s[8:9], 0, v67
	v_cmp_eq_u32_e64 s[10:11], 0, v52
	v_cndmask_b32_e32 v68, 8, v65, vcc
	v_cndmask_b32_e32 v69, 12, v103, vcc
	v_mov_b32_e32 v167, 0xe0
	v_cndmask_b32_e64 v77, v101, v140, s[12:13]
	v_cndmask_b32_e64 v78, v102, v144, s[12:13]
	v_cndmask_b32_e64 v79, v65, v148, s[12:13]
	v_cndmask_b32_e64 v80, v103, v151, s[12:13]
	v_cndmask_b32_e64 v87, v101, v112, s[4:5]
	v_cndmask_b32_e64 v88, v102, v116, s[4:5]
	v_cndmask_b32_e64 v89, v65, v120, s[4:5]
	v_cndmask_b32_e64 v90, v103, v123, s[4:5]
	v_cndmask_b32_e64 v96, v101, v105, s[6:7]
	v_cndmask_b32_e64 v97, v102, v106, s[6:7]
	v_cndmask_b32_e64 v98, v65, v107, s[6:7]
	v_cndmask_b32_e64 v99, v103, v108, s[6:7]
	v_cndmask_b32_e64 v100, v101, v65, s[8:9]
	v_cndmask_b32_e64 v101, v101, v102, s[10:11]
	v_cndmask_b32_e64 v102, v102, v103, s[8:9]
	v_cndmask_b32_e64 v103, v65, v103, s[10:11]
	v_mov_b32_e32 v65, 0xe4
	v_mov_b32_e32 v173, 0xe8
	;; [unrolled: 1-line block ×7, first 2 shown]
	v_cndmask_b32_e64 v109, v112, v167, s[12:13]
	v_cndmask_b32_e64 v114, v116, v65, s[12:13]
	;; [unrolled: 1-line block ×4, first 2 shown]
	v_mov_b32_e32 v227, 0x48
	v_cndmask_b32_e32 v164, v188, v167, vcc
	v_cndmask_b32_e64 v165, v167, v178, s[6:7]
	v_cndmask_b32_e64 v166, v167, v173, s[8:9]
	;; [unrolled: 1-line block ×3, first 2 shown]
	v_cndmask_b32_e32 v168, v192, v65, vcc
	v_cndmask_b32_e64 v169, v65, v180, s[6:7]
	v_cndmask_b32_e64 v170, v65, v175, s[8:9]
	v_mov_b32_e32 v65, 0x68
	v_mov_b32_e32 v199, 0x6c
	;; [unrolled: 1-line block ×3, first 2 shown]
	v_cndmask_b32_e32 v171, v65, v173, vcc
	v_cndmask_b32_e64 v187, v188, v65, s[8:9]
	v_cndmask_b32_e64 v193, 40, v65, s[12:13]
	;; [unrolled: 1-line block ×5, first 2 shown]
	v_lshlrev_b32_e32 v65, 2, v67
	v_lshlrev_b32_e32 v52, 2, v52
	v_mov_b32_e32 v127, 0xb0
	v_mov_b32_e32 v130, 0xb4
	;; [unrolled: 1-line block ×9, first 2 shown]
	v_cndmask_b32_e64 v232, 4, 12, s[8:9]
	v_cndmask_b32_e64 v233, 8, 12, s[10:11]
	v_mov_b32_e32 v182, 0xf8
	v_bfrev_b32_e32 v183, 0.5
	v_mov_b32_e32 v229, 0x4c
	v_mov_b32_e32 v215, 0x50
	;; [unrolled: 1-line block ×8, first 2 shown]
	v_xor_b32_e32 v65, 8, v65
	v_xor_b32_e32 v52, 4, v52
	v_lshlrev_b32_e32 v66, 2, v66
	v_cndmask_b32_e32 v70, 16, v105, vcc
	v_cndmask_b32_e32 v71, 20, v106, vcc
	;; [unrolled: 1-line block ×5, first 2 shown]
	v_cndmask_b32_e64 v76, 4, v231, s[12:13]
	v_cndmask_b32_e64 v81, v105, v155, s[12:13]
	;; [unrolled: 1-line block ×18, first 2 shown]
	v_cndmask_b32_e32 v113, 36, v116, vcc
	v_cndmask_b32_e64 v115, v116, v130, s[6:7]
	v_cndmask_b32_e64 v116, v116, v123, s[8:9]
	v_cndmask_b32_e32 v117, 40, v120, vcc
	v_cndmask_b32_e64 v118, v120, v173, s[12:13]
	v_cndmask_b32_e64 v119, v120, v133, s[6:7]
	;; [unrolled: 1-line block ×3, first 2 shown]
	v_cndmask_b32_e32 v121, 44, v123, vcc
	v_cndmask_b32_e64 v122, v123, v175, s[12:13]
	v_cndmask_b32_e64 v123, v123, v135, s[6:7]
	v_cndmask_b32_e32 v124, 48, v127, vcc
	v_cndmask_b32_e64 v125, v127, v178, s[12:13]
	v_cndmask_b32_e64 v126, v127, v133, s[8:9]
	;; [unrolled: 1-line block ×3, first 2 shown]
	v_cndmask_b32_e32 v128, 52, v130, vcc
	v_cndmask_b32_e64 v129, v130, v180, s[12:13]
	v_cndmask_b32_e64 v130, v130, v135, s[8:9]
	v_cndmask_b32_e32 v131, 56, v133, vcc
	v_cndmask_b32_e64 v132, v133, v182, s[12:13]
	v_cndmask_b32_e64 v133, v133, v135, s[10:11]
	v_cndmask_b32_e32 v134, 60, v135, vcc
	v_cndmask_b32_e64 v135, v135, v183, s[12:13]
	v_cndmask_b32_e32 v136, 64, v140, vcc
	v_cndmask_b32_e64 v138, v140, v155, s[6:7]
	v_cndmask_b32_e64 v139, v140, v148, s[8:9]
	v_cndmask_b32_e64 v140, v140, v144, s[10:11]
	v_cndmask_b32_e32 v141, v231, v144, vcc
	v_cndmask_b32_e64 v143, v144, v158, s[6:7]
	v_cndmask_b32_e64 v144, v144, v151, s[8:9]
	v_cndmask_b32_e32 v145, v227, v148, vcc
	v_cndmask_b32_e64 v146, v148, v173, s[4:5]
	v_cndmask_b32_e64 v147, v148, v161, s[6:7]
	v_cndmask_b32_e64 v148, v148, v151, s[10:11]
	v_cndmask_b32_e32 v149, v229, v151, vcc
	v_cndmask_b32_e64 v150, v151, v175, s[4:5]
	;; [unrolled: 7-line block ×3, first 2 shown]
	v_cndmask_b32_e64 v158, v158, v163, s[8:9]
	v_cndmask_b32_e32 v159, v221, v161, vcc
	v_cndmask_b32_e64 v160, v161, v182, s[4:5]
	v_cndmask_b32_e64 v161, v161, v163, s[10:11]
	v_cndmask_b32_e32 v162, v223, v163, vcc
	v_cndmask_b32_e64 v163, v163, v183, s[4:5]
	v_cndmask_b32_e64 v172, v173, v182, s[6:7]
	;; [unrolled: 1-line block ×3, first 2 shown]
	v_cndmask_b32_e32 v174, v199, v175, vcc
	v_cndmask_b32_e64 v175, v175, v183, s[6:7]
	v_cndmask_b32_e32 v176, v203, v178, vcc
	v_cndmask_b32_e64 v177, v178, v182, s[8:9]
	v_cndmask_b32_e64 v178, v178, v180, s[10:11]
	v_cndmask_b32_e32 v179, v206, v180, vcc
	v_cndmask_b32_e64 v180, v180, v183, s[8:9]
	v_cndmask_b32_e32 v181, v209, v182, vcc
	;; [unrolled: 2-line block ×3, first 2 shown]
	v_cndmask_b32_e64 v184, 32, v188, s[12:13]
	v_cndmask_b32_e64 v185, 64, v188, s[4:5]
	;; [unrolled: 1-line block ×35, first 2 shown]
	v_or_b32_e32 v224, 0, v65
	v_cndmask_b32_e64 v225, 8, v227, s[12:13]
	v_cndmask_b32_e64 v226, 64, v227, s[8:9]
	;; [unrolled: 1-line block ×5, first 2 shown]
	v_or_b32_e32 v230, 0, v52
	v_cndmask_b32_e64 v231, 64, v231, s[10:11]
	v_or_b32_e32 v232, 0, v232
	v_or_b32_e32 v233, 0, v233
	v_cndmask_b32_e64 v234, 8, 40, s[4:5]
	v_cndmask_b32_e64 v235, 12, 44, s[4:5]
	;; [unrolled: 1-line block ×24, first 2 shown]
	v_mov_b32_e32 v52, v64
.LBB109_2:                              ; =>This Inner Loop Header: Depth=1
	s_waitcnt vmcnt(6)
	scratch_store_dwordx4 off, v[52:55], off
	scratch_store_dwordx4 off, v[40:43], off offset:16
	scratch_store_dwordx4 off, v[36:39], off offset:32
	;; [unrolled: 1-line block ×10, first 2 shown]
	v_accvgpr_read_b32 v13, a0
	scratch_load_dword v12, v13, off
	s_add_i32 s3, s3, -1
	scratch_store_dwordx4 off, v[0:3], off offset:176
	s_waitcnt vmcnt(18)
	scratch_store_dwordx4 off, v[60:63], off offset:192
	s_cmp_lg_u32 s3, 0
	s_waitcnt vmcnt(2)
	ds_bpermute_b32 v12, v66, v12
	s_waitcnt lgkmcnt(0)
	scratch_store_dword v13, v12, off
	v_accvgpr_read_b32 v13, a1
	scratch_load_dword v12, v13, off
	s_waitcnt vmcnt(0)
	ds_bpermute_b32 v12, v66, v12
	s_waitcnt lgkmcnt(0)
	scratch_store_dword v13, v12, off
	scratch_load_dword v12, v68, off
	s_waitcnt vmcnt(0)
	ds_bpermute_b32 v12, v66, v12
	s_waitcnt lgkmcnt(0)
	scratch_store_dword v68, v12, off
	;; [unrolled: 5-line block ×16, first 2 shown]
	scratch_load_dword v0, v141, off
	s_nop 0
	scratch_load_dword v1, v75, off
	s_waitcnt vmcnt(1)
	ds_bpermute_b32 v0, v66, v0
	s_waitcnt vmcnt(0)
	ds_swizzle_b32 v1, v1 offset:swizzle(SWAP,16)
	scratch_store_dwordx4 off, v[56:59], off offset:208
	scratch_store_dwordx4 off, v[48:51], off offset:224
	s_waitcnt lgkmcnt(1)
	scratch_store_dword v141, v0, off
	scratch_load_dword v0, v145, off
	s_waitcnt lgkmcnt(0)
	scratch_store_dword v75, v1, off
	scratch_load_dword v1, v76, off
	s_waitcnt vmcnt(2)
	ds_bpermute_b32 v0, v66, v0
	s_waitcnt vmcnt(0)
	ds_swizzle_b32 v1, v1 offset:swizzle(SWAP,16)
	s_waitcnt lgkmcnt(1)
	scratch_store_dword v145, v0, off
	scratch_load_dword v0, v149, off
	s_waitcnt lgkmcnt(0)
	scratch_store_dword v76, v1, off
	scratch_load_dword v1, v225, off
	s_waitcnt vmcnt(2)
	ds_bpermute_b32 v0, v66, v0
	s_waitcnt vmcnt(0)
	ds_swizzle_b32 v1, v1 offset:swizzle(SWAP,16)
	;; [unrolled: 10-line block ×8, first 2 shown]
	s_waitcnt lgkmcnt(1)
	scratch_store_dword v168, v0, off
	scratch_load_dword v0, v171, off
	s_waitcnt vmcnt(0)
	ds_bpermute_b32 v0, v66, v0
	s_waitcnt lgkmcnt(1)
	scratch_store_dword v184, v1, off
	scratch_load_dword v1, v189, off
	s_nop 0
	scratch_load_dword v2, v85, off
	s_waitcnt vmcnt(1)
	ds_swizzle_b32 v1, v1 offset:swizzle(SWAP,16)
	s_waitcnt lgkmcnt(1)
	scratch_store_dword v171, v0, off
	scratch_load_dword v0, v174, off
	s_waitcnt vmcnt(2)
	ds_swizzle_b32 v2, v2 offset:swizzle(SWAP,8)
	scratch_store_dwordx4 off, v[44:47], off offset:240
	s_waitcnt lgkmcnt(1)
	scratch_store_dword v189, v1, off
	s_waitcnt lgkmcnt(0)
	scratch_store_dword v85, v2, off
	scratch_load_dword v1, v193, off
	s_nop 0
	scratch_load_dword v2, v86, off
	s_waitcnt vmcnt(5)
	ds_bpermute_b32 v0, v66, v0
	s_waitcnt lgkmcnt(0)
	scratch_store_dword v174, v0, off
	scratch_load_dword v0, v176, off
	s_waitcnt vmcnt(3)
	ds_swizzle_b32 v1, v1 offset:swizzle(SWAP,16)
	s_waitcnt vmcnt(2)
	ds_swizzle_b32 v2, v2 offset:swizzle(SWAP,8)
	s_waitcnt lgkmcnt(1)
	scratch_store_dword v193, v1, off
	s_waitcnt lgkmcnt(0)
	scratch_store_dword v86, v2, off
	scratch_load_dword v1, v197, off
	s_nop 0
	scratch_load_dword v2, v234, off
	s_waitcnt vmcnt(4)
	ds_bpermute_b32 v0, v66, v0
	s_waitcnt lgkmcnt(0)
	scratch_store_dword v176, v0, off
	scratch_load_dword v0, v179, off
	s_waitcnt vmcnt(3)
	ds_swizzle_b32 v1, v1 offset:swizzle(SWAP,16)
	s_waitcnt vmcnt(2)
	ds_swizzle_b32 v2, v2 offset:swizzle(SWAP,8)
	;; [unrolled: 16-line block ×4, first 2 shown]
	s_waitcnt lgkmcnt(1)
	scratch_store_dword v204, v1, off
	s_waitcnt lgkmcnt(0)
	scratch_store_dword v236, v2, off
	scratch_load_dword v1, v207, off
	s_nop 0
	scratch_load_dword v2, v237, off
	scratch_load_dword v3, v94, off
	s_waitcnt vmcnt(5)
	ds_bpermute_b32 v0, v66, v0
	s_waitcnt lgkmcnt(0)
	scratch_store_dword v183, v0, off
	scratch_load_dword v0, v77, off
	s_waitcnt vmcnt(4)
	ds_swizzle_b32 v1, v1 offset:swizzle(SWAP,16)
	s_waitcnt vmcnt(3)
	ds_swizzle_b32 v2, v2 offset:swizzle(SWAP,8)
	;; [unrolled: 2-line block ×3, first 2 shown]
	s_waitcnt lgkmcnt(2)
	scratch_store_dword v207, v1, off
	s_waitcnt lgkmcnt(1)
	scratch_store_dword v237, v2, off
	;; [unrolled: 2-line block ×3, first 2 shown]
	scratch_load_dword v1, v238, off
	scratch_load_dword v2, v95, off
	s_nop 0
	scratch_load_dword v3, v210, off
	s_waitcnt vmcnt(6)
	ds_swizzle_b32 v0, v0 offset:swizzle(SWAP,16)
	s_waitcnt lgkmcnt(0)
	scratch_store_dword v77, v0, off
	scratch_load_dword v0, v78, off
	s_waitcnt vmcnt(2)
	ds_swizzle_b32 v3, v3 offset:swizzle(SWAP,16)
	ds_swizzle_b32 v1, v1 offset:swizzle(SWAP,8)
	;; [unrolled: 1-line block ×3, first 2 shown]
	s_waitcnt lgkmcnt(2)
	scratch_store_dword v210, v3, off
	s_waitcnt lgkmcnt(1)
	scratch_store_dword v238, v1, off
	;; [unrolled: 2-line block ×3, first 2 shown]
	scratch_load_dword v1, v239, off
	s_nop 0
	scratch_load_dword v2, v240, off
	s_waitcnt vmcnt(5)
	ds_swizzle_b32 v0, v0 offset:swizzle(SWAP,16)
	s_waitcnt lgkmcnt(0)
	scratch_store_dword v78, v0, off
	scratch_load_dword v0, v79, off
	s_waitcnt vmcnt(3)
	ds_swizzle_b32 v1, v1 offset:swizzle(SWAP,8)
	s_waitcnt vmcnt(2)
	ds_swizzle_b32 v2, v2 offset:swizzle(SWAP,4)
	s_waitcnt lgkmcnt(1)
	scratch_store_dword v239, v1, off
	s_waitcnt lgkmcnt(0)
	scratch_store_dword v240, v2, off
	scratch_load_dword v1, v185, off
	s_nop 0
	scratch_load_dword v2, v241, off
	scratch_load_dword v3, v224, off
	s_waitcnt vmcnt(5)
	ds_swizzle_b32 v0, v0 offset:swizzle(SWAP,16)
	s_waitcnt lgkmcnt(0)
	scratch_store_dword v79, v0, off
	scratch_load_dword v0, v80, off
	s_waitcnt vmcnt(4)
	ds_swizzle_b32 v1, v1 offset:swizzle(SWAP,8)
	s_waitcnt vmcnt(3)
	ds_swizzle_b32 v2, v2 offset:swizzle(SWAP,4)
	;; [unrolled: 2-line block ×3, first 2 shown]
	s_waitcnt lgkmcnt(2)
	scratch_store_dword v185, v1, off
	s_waitcnt lgkmcnt(1)
	scratch_store_dword v241, v2, off
	;; [unrolled: 2-line block ×3, first 2 shown]
	scratch_load_dword v1, v190, off
	scratch_load_dword v2, v242, off
	s_nop 0
	scratch_load_dword v3, v232, off
	scratch_load_dword v4, v246, off
	s_waitcnt vmcnt(7)
	ds_swizzle_b32 v0, v0 offset:swizzle(SWAP,16)
	s_waitcnt lgkmcnt(0)
	scratch_store_dword v80, v0, off
	scratch_load_dword v5, v81, off
	s_waitcnt vmcnt(5)
	ds_swizzle_b32 v0, v1 offset:swizzle(SWAP,8)
	s_waitcnt vmcnt(4)
	ds_swizzle_b32 v1, v2 offset:swizzle(SWAP,4)
	;; [unrolled: 2-line block ×4, first 2 shown]
	s_waitcnt lgkmcnt(3)
	scratch_store_dword v190, v0, off
	s_waitcnt lgkmcnt(2)
	scratch_store_dword v242, v1, off
	;; [unrolled: 2-line block ×4, first 2 shown]
	scratch_load_dword v1, v194, off
	scratch_load_dword v2, v243, off
	s_nop 0
	scratch_load_dword v3, v247, off
	scratch_load_dword v0, v233, off
	s_waitcnt vmcnt(8)
	ds_swizzle_b32 v4, v5 offset:swizzle(SWAP,16)
	s_waitcnt vmcnt(3)
	ds_swizzle_b32 v1, v1 offset:swizzle(SWAP,8)
	s_waitcnt lgkmcnt(1)
	scratch_store_dword v81, v4, off
	scratch_load_dword v4, v82, off
	s_waitcnt vmcnt(4)
	ds_swizzle_b32 v2, v2 offset:swizzle(SWAP,4)
	s_waitcnt lgkmcnt(1)
	scratch_store_dword v194, v1, off
	s_waitcnt lgkmcnt(0)
	scratch_store_dword v243, v2, off
	scratch_load_dword v2, v198, off
	s_nop 0
	scratch_load_dword v5, v244, off
	scratch_load_dword v1, v230, off
	s_waitcnt vmcnt(8)
	ds_swizzle_b32 v3, v3 offset:swizzle(SWAP,2)
	s_waitcnt vmcnt(7)
	ds_swizzle_b32 v0, v0 offset:swizzle(SWAP,1)
	s_waitcnt lgkmcnt(1)
	scratch_store_dword v247, v3, off
	s_waitcnt vmcnt(6)
	ds_swizzle_b32 v4, v4 offset:swizzle(SWAP,16)
	s_waitcnt vmcnt(3)
	ds_swizzle_b32 v2, v2 offset:swizzle(SWAP,8)
	s_waitcnt lgkmcnt(1)
	scratch_store_dword v82, v4, off
	scratch_load_dword v4, v83, off
	s_waitcnt vmcnt(4)
	ds_swizzle_b32 v3, v5 offset:swizzle(SWAP,4)
	s_waitcnt lgkmcnt(1)
	scratch_store_dword v198, v2, off
	s_waitcnt lgkmcnt(0)
	scratch_store_dword v244, v3, off
	scratch_load_dword v3, v201, off
	s_nop 0
	scratch_load_dword v5, v245, off
	scratch_load_dword v6, v248, off
	;; [unrolled: 1-line block ×3, first 2 shown]
	s_waitcnt vmcnt(6)
	ds_swizzle_b32 v4, v4 offset:swizzle(SWAP,16)
	s_waitcnt vmcnt(3)
	ds_swizzle_b32 v3, v3 offset:swizzle(SWAP,8)
	;; [unrolled: 2-line block ×3, first 2 shown]
	s_waitcnt lgkmcnt(2)
	scratch_store_dword v83, v4, off
	scratch_load_dword v4, v84, off
	s_waitcnt vmcnt(3)
	ds_swizzle_b32 v6, v6 offset:swizzle(SWAP,2)
	s_waitcnt lgkmcnt(2)
	scratch_store_dword v201, v3, off
	s_waitcnt lgkmcnt(1)
	scratch_store_dword v245, v5, off
	;; [unrolled: 2-line block ×3, first 2 shown]
	scratch_load_dword v5, v205, off
	s_nop 0
	scratch_load_dword v6, v213, off
	scratch_load_dword v7, v249, off
	;; [unrolled: 1-line block ×3, first 2 shown]
	s_waitcnt vmcnt(7)
	ds_swizzle_b32 v4, v4 offset:swizzle(SWAP,16)
	s_waitcnt lgkmcnt(0)
	scratch_store_dword v84, v4, off
	scratch_load_dword v8, v109, off
	s_waitcnt vmcnt(5)
	ds_swizzle_b32 v4, v5 offset:swizzle(SWAP,8)
	s_waitcnt vmcnt(4)
	ds_swizzle_b32 v5, v6 offset:swizzle(SWAP,4)
	;; [unrolled: 2-line block ×3, first 2 shown]
	s_waitcnt lgkmcnt(2)
	scratch_store_dword v205, v4, off
	s_waitcnt lgkmcnt(1)
	scratch_store_dword v213, v5, off
	s_waitcnt lgkmcnt(0)
	scratch_store_dword v249, v6, off
	scratch_load_dword v5, v208, off
	s_nop 0
	scratch_load_dword v6, v217, off
	scratch_load_dword v7, v250, off
	scratch_load_dword v4, v254, off
	s_waitcnt vmcnt(9)
	ds_swizzle_b32 v3, v3 offset:swizzle(SWAP,1)
	s_waitcnt vmcnt(7)
	ds_swizzle_b32 v8, v8 offset:swizzle(SWAP,16)
	;; [unrolled: 2-line block ×3, first 2 shown]
	s_waitcnt lgkmcnt(1)
	scratch_store_dword v109, v8, off
	scratch_load_dword v8, v114, off
	s_waitcnt vmcnt(4)
	ds_swizzle_b32 v6, v6 offset:swizzle(SWAP,4)
	s_waitcnt vmcnt(3)
	ds_swizzle_b32 v7, v7 offset:swizzle(SWAP,2)
	s_waitcnt lgkmcnt(2)
	scratch_store_dword v208, v5, off
	s_waitcnt lgkmcnt(1)
	scratch_store_dword v217, v6, off
	;; [unrolled: 2-line block ×3, first 2 shown]
	scratch_load_dword v6, v211, off
	s_nop 0
	scratch_load_dword v7, v220, off
	scratch_load_dword v9, v251, off
	;; [unrolled: 1-line block ×3, first 2 shown]
	s_waitcnt vmcnt(7)
	ds_swizzle_b32 v8, v8 offset:swizzle(SWAP,16)
	s_waitcnt vmcnt(3)
	ds_swizzle_b32 v6, v6 offset:swizzle(SWAP,8)
	s_waitcnt vmcnt(2)
	ds_swizzle_b32 v7, v7 offset:swizzle(SWAP,4)
	s_waitcnt lgkmcnt(2)
	scratch_store_dword v114, v8, off
	scratch_load_dword v8, v118, off
	s_nop 0
	scratch_load_dword v10, v87, off
	s_waitcnt vmcnt(4)
	ds_swizzle_b32 v9, v9 offset:swizzle(SWAP,2)
	s_waitcnt lgkmcnt(2)
	scratch_store_dword v211, v6, off
	s_waitcnt lgkmcnt(1)
	scratch_store_dword v220, v7, off
	s_waitcnt lgkmcnt(0)
	scratch_store_dword v251, v9, off
	scratch_load_dword v7, v223, off
	s_nop 0
	scratch_load_dword v9, v226, off
	scratch_load_dword v6, v65, off
	s_waitcnt vmcnt(7)
	ds_swizzle_b32 v8, v8 offset:swizzle(SWAP,16)
	s_waitcnt vmcnt(6)
	ds_swizzle_b32 v10, v10 offset:swizzle(SWAP,8)
	s_waitcnt lgkmcnt(1)
	scratch_store_dword v118, v8, off
	s_waitcnt lgkmcnt(0)
	scratch_store_dword v87, v10, off
	scratch_load_dword v8, v122, off
	s_nop 0
	scratch_load_dword v10, v88, off
	s_waitcnt vmcnt(6)
	ds_swizzle_b32 v7, v7 offset:swizzle(SWAP,4)
	s_waitcnt vmcnt(5)
	ds_swizzle_b32 v9, v9 offset:swizzle(SWAP,2)
	s_waitcnt lgkmcnt(1)
	scratch_store_dword v223, v7, off
	s_waitcnt lgkmcnt(0)
	scratch_store_dword v226, v9, off
	scratch_load_dword v9, v186, off
	s_nop 0
	scratch_load_dword v11, v229, off
	scratch_load_dword v7, v67, off
	s_waitcnt vmcnt(6)
	ds_swizzle_b32 v8, v8 offset:swizzle(SWAP,16)
	s_waitcnt vmcnt(5)
	ds_swizzle_b32 v10, v10 offset:swizzle(SWAP,8)
	s_waitcnt lgkmcnt(1)
	scratch_store_dword v122, v8, off
	s_waitcnt lgkmcnt(0)
	scratch_store_dword v88, v10, off
	scratch_load_dword v10, v125, off
	s_nop 0
	scratch_load_dword v12, v89, off
	s_waitcnt vmcnt(6)
	ds_swizzle_b32 v8, v9 offset:swizzle(SWAP,4)
	s_waitcnt vmcnt(5)
	ds_swizzle_b32 v9, v11 offset:swizzle(SWAP,2)
	s_waitcnt lgkmcnt(1)
	scratch_store_dword v186, v8, off
	s_waitcnt lgkmcnt(0)
	scratch_store_dword v229, v9, off
	;; [unrolled: 23-line block ×6, first 2 shown]
	scratch_load_dword v13, v97, off
	s_nop 0
	scratch_load_dword v15, v202, off
	scratch_load_dword v12, v188, off
	s_waitcnt vmcnt(6)
	ds_swizzle_b32 v14, v14 offset:swizzle(SWAP,8)
	s_waitcnt vmcnt(5)
	ds_swizzle_b32 v16, v16 offset:swizzle(SWAP,8)
	s_waitcnt lgkmcnt(1)
	scratch_store_dword v137, v14, off
	scratch_load_dword v14, v142, off
	s_waitcnt vmcnt(4)
	ds_swizzle_b32 v13, v13 offset:swizzle(SWAP,4)
	s_waitcnt vmcnt(3)
	ds_swizzle_b32 v15, v15 offset:swizzle(SWAP,2)
	s_waitcnt lgkmcnt(2)
	scratch_store_dword v93, v16, off
	s_waitcnt lgkmcnt(1)
	scratch_store_dword v97, v13, off
	;; [unrolled: 2-line block ×3, first 2 shown]
	scratch_load_dword v15, v98, off
	s_nop 0
	scratch_load_dword v16, v206, off
	scratch_load_dword v13, v196, off
	;; [unrolled: 1-line block ×3, first 2 shown]
	s_waitcnt vmcnt(7)
	ds_swizzle_b32 v14, v14 offset:swizzle(SWAP,8)
	s_waitcnt vmcnt(3)
	ds_swizzle_b32 v15, v15 offset:swizzle(SWAP,4)
	;; [unrolled: 2-line block ×3, first 2 shown]
	s_waitcnt lgkmcnt(2)
	scratch_store_dword v142, v14, off
	scratch_load_dword v18, v146, off
	s_waitcnt vmcnt(2)
	ds_swizzle_b32 v14, v17 offset:swizzle(SWAP,8)
	s_waitcnt lgkmcnt(0)
	scratch_store_dword v108, v14, off
	scratch_store_dword v98, v15, off
	;; [unrolled: 1-line block ×3, first 2 shown]
	scratch_load_dword v15, v99, off
	s_nop 0
	scratch_load_dword v16, v100, off
	scratch_load_dword v14, v203, off
	s_waitcnt vmcnt(6)
	ds_swizzle_b32 v17, v18 offset:swizzle(SWAP,8)
	s_waitcnt lgkmcnt(0)
	scratch_store_dword v146, v17, off
	scratch_load_dword v17, v150, off
	s_waitcnt vmcnt(4)
	ds_swizzle_b32 v15, v15 offset:swizzle(SWAP,4)
	s_waitcnt vmcnt(3)
	ds_swizzle_b32 v16, v16 offset:swizzle(SWAP,2)
	s_waitcnt lgkmcnt(1)
	scratch_store_dword v99, v15, off
	s_waitcnt lgkmcnt(0)
	scratch_store_dword v100, v16, off
	scratch_load_dword v16, v110, off
	s_nop 0
	scratch_load_dword v18, v102, off
	scratch_load_dword v15, v209, off
	s_waitcnt vmcnt(5)
	ds_swizzle_b32 v17, v17 offset:swizzle(SWAP,8)
	s_waitcnt lgkmcnt(0)
	scratch_store_dword v150, v17, off
	scratch_load_dword v17, v153, off
	s_waitcnt vmcnt(4)
	ds_swizzle_b32 v16, v16 offset:swizzle(SWAP,4)
	s_waitcnt vmcnt(3)
	ds_swizzle_b32 v18, v18 offset:swizzle(SWAP,2)
	s_waitcnt lgkmcnt(1)
	scratch_store_dword v110, v16, off
	s_waitcnt lgkmcnt(0)
	scratch_store_dword v102, v18, off
	scratch_load_dword v16, v115, off
	s_nop 0
	scratch_load_dword v18, v104, off
	scratch_load_dword v44, v101, off
	s_waitcnt vmcnt(5)
	ds_swizzle_b32 v17, v17 offset:swizzle(SWAP,8)
	s_waitcnt lgkmcnt(0)
	scratch_store_dword v153, v17, off
	scratch_load_dword v17, v157, off
	s_waitcnt vmcnt(4)
	ds_swizzle_b32 v16, v16 offset:swizzle(SWAP,4)
	s_waitcnt vmcnt(3)
	ds_swizzle_b32 v18, v18 offset:swizzle(SWAP,2)
	s_waitcnt lgkmcnt(1)
	scratch_store_dword v115, v16, off
	s_waitcnt lgkmcnt(0)
	scratch_store_dword v104, v18, off
	scratch_load_dword v16, v119, off
	s_nop 0
	scratch_load_dword v18, v106, off
	scratch_load_dword v45, v103, off
	s_waitcnt vmcnt(5)
	ds_swizzle_b32 v17, v17 offset:swizzle(SWAP,8)
	s_waitcnt lgkmcnt(0)
	scratch_store_dword v157, v17, off
	scratch_load_dword v17, v160, off
	s_waitcnt vmcnt(4)
	ds_swizzle_b32 v16, v16 offset:swizzle(SWAP,4)
	s_waitcnt vmcnt(3)
	ds_swizzle_b32 v18, v18 offset:swizzle(SWAP,2)
	s_waitcnt lgkmcnt(1)
	scratch_store_dword v119, v16, off
	s_waitcnt lgkmcnt(0)
	scratch_store_dword v106, v18, off
	scratch_load_dword v16, v123, off
	s_nop 0
	scratch_load_dword v18, v111, off
	scratch_load_dword v46, v105, off
	s_waitcnt vmcnt(5)
	ds_swizzle_b32 v17, v17 offset:swizzle(SWAP,8)
	s_waitcnt lgkmcnt(0)
	scratch_store_dword v160, v17, off
	scratch_load_dword v17, v163, off
	s_nop 0
	scratch_load_dword v19, v138, off
	s_waitcnt vmcnt(5)
	ds_swizzle_b32 v16, v16 offset:swizzle(SWAP,4)
	s_waitcnt vmcnt(4)
	ds_swizzle_b32 v18, v18 offset:swizzle(SWAP,2)
	s_waitcnt lgkmcnt(1)
	scratch_store_dword v123, v16, off
	s_waitcnt lgkmcnt(0)
	scratch_store_dword v111, v18, off
	scratch_load_dword v16, v116, off
	scratch_load_dword v47, v107, off
	s_waitcnt vmcnt(5)
	ds_swizzle_b32 v17, v17 offset:swizzle(SWAP,8)
	s_waitcnt vmcnt(4)
	ds_swizzle_b32 v18, v19 offset:swizzle(SWAP,4)
	s_waitcnt lgkmcnt(1)
	scratch_store_dword v163, v17, off
	s_waitcnt lgkmcnt(0)
	scratch_store_dword v138, v18, off
	scratch_load_dword v17, v143, off
	s_nop 0
	scratch_load_dword v18, v165, off
	s_waitcnt vmcnt(5)
	ds_swizzle_b32 v16, v16 offset:swizzle(SWAP,2)
	s_waitcnt lgkmcnt(0)
	scratch_store_dword v116, v16, off
	scratch_load_dword v16, v126, off
	s_nop 0
	scratch_load_dword v48, v112, off
	s_waitcnt vmcnt(4)
	ds_swizzle_b32 v17, v17 offset:swizzle(SWAP,4)
	s_waitcnt vmcnt(3)
	ds_swizzle_b32 v18, v18 offset:swizzle(SWAP,4)
	s_waitcnt lgkmcnt(1)
	scratch_store_dword v143, v17, off
	s_waitcnt lgkmcnt(0)
	scratch_store_dword v165, v18, off
	scratch_load_dword v17, v147, off
	s_nop 0
	scratch_load_dword v18, v169, off
	s_waitcnt vmcnt(5)
	ds_swizzle_b32 v16, v16 offset:swizzle(SWAP,2)
	s_waitcnt lgkmcnt(0)
	scratch_store_dword v126, v16, off
	scratch_load_dword v16, v130, off
	s_nop 0
	;; [unrolled: 18-line block ×3, first 2 shown]
	scratch_load_dword v50, v127, off
	s_waitcnt vmcnt(4)
	ds_swizzle_b32 v17, v17 offset:swizzle(SWAP,4)
	s_waitcnt lgkmcnt(0)
	scratch_store_dword v172, v17, off
	scratch_load_dword v19, v175, off
	s_waitcnt vmcnt(5)
	ds_swizzle_b32 v17, v18 offset:swizzle(SWAP,4)
	s_waitcnt vmcnt(3)
	ds_swizzle_b32 v16, v16 offset:swizzle(SWAP,2)
	s_waitcnt lgkmcnt(1)
	scratch_store_dword v151, v17, off
	s_waitcnt lgkmcnt(0)
	scratch_store_dword v139, v16, off
	scratch_load_dword v16, v154, off
	s_nop 0
	scratch_load_dword v17, v166, off
	scratch_load_dword v51, v133, off
	;; [unrolled: 1-line block ×3, first 2 shown]
	s_waitcnt vmcnt(6)
	ds_swizzle_b32 v19, v19 offset:swizzle(SWAP,4)
	scratch_store_dword v233, v0, off
	ds_swizzle_b32 v0, v1 offset:swizzle(SWAP,1)
	s_waitcnt lgkmcnt(1)
	scratch_store_dword v175, v19, off
	scratch_load_dword v19, v177, off
	s_waitcnt vmcnt(5)
	ds_swizzle_b32 v1, v17 offset:swizzle(SWAP,2)
	s_waitcnt lgkmcnt(1)
	scratch_store_dword v230, v0, off
	ds_swizzle_b32 v0, v2 offset:swizzle(SWAP,1)
	s_waitcnt vmcnt(4)
	ds_swizzle_b32 v2, v18 offset:swizzle(SWAP,2)
	s_waitcnt lgkmcnt(1)
	scratch_store_dword v252, v0, off
	ds_swizzle_b32 v0, v16 offset:swizzle(SWAP,2)
	s_waitcnt lgkmcnt(0)
	scratch_store_dword v154, v0, off
	scratch_store_dword v166, v1, off
	;; [unrolled: 1-line block ×3, first 2 shown]
	scratch_load_dword v0, v158, off
	s_nop 0
	scratch_load_dword v52, v140, off
	scratch_load_dword v1, v170, off
	s_waitcnt vmcnt(8)
	ds_swizzle_b32 v2, v19 offset:swizzle(SWAP,2)
	scratch_store_dword v253, v3, off
	s_waitcnt lgkmcnt(0)
	scratch_store_dword v177, v2, off
	scratch_load_dword v2, v180, off
	s_nop 0
	scratch_load_dwordx4 v[40:43], off, off offset:16
	ds_swizzle_b32 v3, v4 offset:swizzle(SWAP,1)
	s_waitcnt lgkmcnt(0)
	scratch_store_dword v254, v3, off
	ds_swizzle_b32 v3, v5 offset:swizzle(SWAP,1)
	s_waitcnt vmcnt(7)
	ds_swizzle_b32 v0, v0 offset:swizzle(SWAP,2)
	s_waitcnt vmcnt(5)
	ds_swizzle_b32 v1, v1 offset:swizzle(SWAP,2)
	s_waitcnt lgkmcnt(2)
	scratch_store_dword v255, v3, off
	ds_swizzle_b32 v3, v6 offset:swizzle(SWAP,1)
	scratch_load_dwordx4 v[36:39], off, off offset:32
	s_waitcnt lgkmcnt(0)
	scratch_store_dword v65, v3, off
	ds_swizzle_b32 v3, v7 offset:swizzle(SWAP,1)
	s_waitcnt lgkmcnt(0)
	scratch_store_dword v67, v3, off
	scratch_load_dwordx4 v[32:35], off, off offset:48
	ds_swizzle_b32 v3, v8 offset:swizzle(SWAP,1)
	s_waitcnt lgkmcnt(0)
	scratch_store_dword v231, v3, off
	ds_swizzle_b32 v3, v9 offset:swizzle(SWAP,1)
	s_waitcnt lgkmcnt(0)
	scratch_store_dword v227, v3, off
	ds_swizzle_b32 v3, v10 offset:swizzle(SWAP,1)
	scratch_load_dwordx4 v[28:31], off, off offset:64
	s_waitcnt lgkmcnt(0)
	scratch_store_dword v215, v3, off
	ds_swizzle_b32 v3, v11 offset:swizzle(SWAP,1)
	s_waitcnt lgkmcnt(0)
	scratch_store_dword v221, v3, off
	scratch_load_dwordx4 v[16:19], off, off offset:80
	ds_swizzle_b32 v3, v12 offset:swizzle(SWAP,1)
	s_waitcnt lgkmcnt(0)
	scratch_store_dword v188, v3, off
	ds_swizzle_b32 v3, v13 offset:swizzle(SWAP,1)
	s_waitcnt lgkmcnt(0)
	scratch_store_dword v196, v3, off
	scratch_store_dword v158, v0, off
	;; [unrolled: 1-line block ×3, first 2 shown]
	scratch_load_dword v53, v148, off
	scratch_load_dword v54, v155, off
	;; [unrolled: 1-line block ×5, first 2 shown]
	scratch_load_dwordx4 v[24:27], off, off offset:96
	ds_swizzle_b32 v1, v14 offset:swizzle(SWAP,1)
	s_waitcnt vmcnt(23)
	ds_swizzle_b32 v0, v2 offset:swizzle(SWAP,2)
	s_waitcnt lgkmcnt(0)
	scratch_store_dword v180, v0, off
	scratch_load_dword v58, v178, off
	scratch_load_dword v59, v182, off
	ds_swizzle_b32 v0, v15 offset:swizzle(SWAP,1)
	scratch_store_dword v203, v1, off
	s_waitcnt lgkmcnt(0)
	scratch_store_dword v209, v0, off
	ds_swizzle_b32 v0, v44 offset:swizzle(SWAP,1)
	ds_swizzle_b32 v44, v52 offset:swizzle(SWAP,1)
	scratch_load_dwordx4 v[20:23], off, off offset:112
	s_waitcnt lgkmcnt(1)
	scratch_store_dword v101, v0, off
	ds_swizzle_b32 v0, v45 offset:swizzle(SWAP,1)
	s_waitcnt lgkmcnt(1)
	scratch_store_dword v140, v44, off
	s_waitcnt lgkmcnt(0)
	scratch_store_dword v103, v0, off
	scratch_load_dwordx4 v[12:15], off, off offset:128
	ds_swizzle_b32 v0, v46 offset:swizzle(SWAP,1)
	s_waitcnt lgkmcnt(0)
	scratch_store_dword v105, v0, off
	ds_swizzle_b32 v0, v47 offset:swizzle(SWAP,1)
	s_waitcnt lgkmcnt(0)
	scratch_store_dword v107, v0, off
	ds_swizzle_b32 v0, v48 offset:swizzle(SWAP,1)
	scratch_load_dwordx4 v[8:11], off, off offset:144
	s_waitcnt vmcnt(18)
	ds_swizzle_b32 v44, v53 offset:swizzle(SWAP,1)
	s_waitcnt lgkmcnt(1)
	scratch_store_dword v112, v0, off
	ds_swizzle_b32 v0, v49 offset:swizzle(SWAP,1)
	s_waitcnt vmcnt(18)
	ds_swizzle_b32 v45, v54 offset:swizzle(SWAP,1)
	s_waitcnt vmcnt(17)
	;; [unrolled: 2-line block ×4, first 2 shown]
	ds_swizzle_b32 v48, v57 offset:swizzle(SWAP,1)
	s_waitcnt lgkmcnt(4)
	scratch_store_dword v120, v0, off
	scratch_load_dwordx4 v[4:7], off, off offset:160
	ds_swizzle_b32 v0, v50 offset:swizzle(SWAP,1)
	s_waitcnt lgkmcnt(0)
	scratch_store_dword v127, v0, off
	ds_swizzle_b32 v0, v51 offset:swizzle(SWAP,1)
	s_waitcnt lgkmcnt(0)
	scratch_store_dword v133, v0, off
	scratch_load_dwordx4 v[0:3], off, off offset:176
	s_nop 0
	scratch_store_dword v148, v44, off
	scratch_store_dword v155, v45, off
	;; [unrolled: 1-line block ×5, first 2 shown]
	scratch_load_dwordx4 v[52:55], off, off
	s_waitcnt vmcnt(23)
	ds_swizzle_b32 v44, v58 offset:swizzle(SWAP,1)
	s_waitcnt vmcnt(22)
	ds_swizzle_b32 v45, v59 offset:swizzle(SWAP,1)
	scratch_load_dwordx4 v[60:63], off, off offset:192
	scratch_load_dwordx4 v[56:59], off, off offset:208
	s_waitcnt lgkmcnt(1)
	scratch_store_dword v178, v44, off
	s_waitcnt lgkmcnt(0)
	scratch_store_dword v182, v45, off
	scratch_load_dwordx4 v[48:51], off, off offset:224
	s_nop 0
	scratch_load_dwordx4 v[44:47], off, off offset:240
	; wave barrier
	s_cbranch_scc1 .LBB109_2
	s_branch .LBB109_4
.LBB109_3:
	v_mov_b32_e32 v65, v53
	v_mov_b64_e32 v[52:53], v[64:65]
.LBB109_4:
	s_load_dwordx2 s[0:1], s[0:1], 0x0
	v_lshl_or_b32 v64, s2, 14, v64
	v_mov_b32_e32 v65, 0
	s_waitcnt lgkmcnt(0)
	v_lshl_add_u64 v[64:65], v[64:65], 2, s[0:1]
	s_waitcnt vmcnt(6)
	global_store_dwordx4 v[64:65], v[52:55], off
	global_store_dwordx4 v[64:65], v[40:43], off offset:16
	global_store_dwordx4 v[64:65], v[36:39], off offset:32
	;; [unrolled: 1-line block ×11, first 2 shown]
	s_waitcnt vmcnt(17)
	global_store_dwordx4 v[64:65], v[60:63], off offset:192
	s_waitcnt vmcnt(17)
	global_store_dwordx4 v[64:65], v[56:59], off offset:208
	;; [unrolled: 2-line block ×4, first 2 shown]
	s_endpgm
	.section	.rodata,"a",@progbits
	.p2align	6, 0x0
	.amdhsa_kernel _Z20warp_exchange_kernelILj256ELj64ELj64EN6common25StripedToBlockedShuffleOpEiEvPT3_j
		.amdhsa_group_segment_fixed_size 0
		.amdhsa_private_segment_fixed_size 272
		.amdhsa_kernarg_size 12
		.amdhsa_user_sgpr_count 2
		.amdhsa_user_sgpr_dispatch_ptr 0
		.amdhsa_user_sgpr_queue_ptr 0
		.amdhsa_user_sgpr_kernarg_segment_ptr 1
		.amdhsa_user_sgpr_dispatch_id 0
		.amdhsa_user_sgpr_kernarg_preload_length 0
		.amdhsa_user_sgpr_kernarg_preload_offset 0
		.amdhsa_user_sgpr_private_segment_size 0
		.amdhsa_uses_dynamic_stack 0
		.amdhsa_enable_private_segment 1
		.amdhsa_system_sgpr_workgroup_id_x 1
		.amdhsa_system_sgpr_workgroup_id_y 0
		.amdhsa_system_sgpr_workgroup_id_z 0
		.amdhsa_system_sgpr_workgroup_info 0
		.amdhsa_system_vgpr_workitem_id 0
		.amdhsa_next_free_vgpr 258
		.amdhsa_next_free_sgpr 14
		.amdhsa_accum_offset 256
		.amdhsa_reserve_vcc 1
		.amdhsa_float_round_mode_32 0
		.amdhsa_float_round_mode_16_64 0
		.amdhsa_float_denorm_mode_32 3
		.amdhsa_float_denorm_mode_16_64 3
		.amdhsa_dx10_clamp 1
		.amdhsa_ieee_mode 1
		.amdhsa_fp16_overflow 0
		.amdhsa_tg_split 0
		.amdhsa_exception_fp_ieee_invalid_op 0
		.amdhsa_exception_fp_denorm_src 0
		.amdhsa_exception_fp_ieee_div_zero 0
		.amdhsa_exception_fp_ieee_overflow 0
		.amdhsa_exception_fp_ieee_underflow 0
		.amdhsa_exception_fp_ieee_inexact 0
		.amdhsa_exception_int_div_zero 0
	.end_amdhsa_kernel
	.section	.text._Z20warp_exchange_kernelILj256ELj64ELj64EN6common25StripedToBlockedShuffleOpEiEvPT3_j,"axG",@progbits,_Z20warp_exchange_kernelILj256ELj64ELj64EN6common25StripedToBlockedShuffleOpEiEvPT3_j,comdat
.Lfunc_end109:
	.size	_Z20warp_exchange_kernelILj256ELj64ELj64EN6common25StripedToBlockedShuffleOpEiEvPT3_j, .Lfunc_end109-_Z20warp_exchange_kernelILj256ELj64ELj64EN6common25StripedToBlockedShuffleOpEiEvPT3_j
                                        ; -- End function
	.section	.AMDGPU.csdata,"",@progbits
; Kernel info:
; codeLenInByte = 8896
; NumSgprs: 20
; NumVgprs: 256
; NumAgprs: 2
; TotalNumVgprs: 258
; ScratchSize: 272
; MemoryBound: 0
; FloatMode: 240
; IeeeMode: 1
; LDSByteSize: 0 bytes/workgroup (compile time only)
; SGPRBlocks: 2
; VGPRBlocks: 32
; NumSGPRsForWavesPerEU: 20
; NumVGPRsForWavesPerEU: 258
; AccumOffset: 256
; Occupancy: 1
; WaveLimiterHint : 0
; COMPUTE_PGM_RSRC2:SCRATCH_EN: 1
; COMPUTE_PGM_RSRC2:USER_SGPR: 2
; COMPUTE_PGM_RSRC2:TRAP_HANDLER: 0
; COMPUTE_PGM_RSRC2:TGID_X_EN: 1
; COMPUTE_PGM_RSRC2:TGID_Y_EN: 0
; COMPUTE_PGM_RSRC2:TGID_Z_EN: 0
; COMPUTE_PGM_RSRC2:TIDIG_COMP_CNT: 0
; COMPUTE_PGM_RSRC3_GFX90A:ACCUM_OFFSET: 63
; COMPUTE_PGM_RSRC3_GFX90A:TG_SPLIT: 0
	.section	.text._Z20warp_exchange_kernelILj256ELj1ELj64E18ScatterToStripedOpiEvPT3_j,"axG",@progbits,_Z20warp_exchange_kernelILj256ELj1ELj64E18ScatterToStripedOpiEvPT3_j,comdat
	.protected	_Z20warp_exchange_kernelILj256ELj1ELj64E18ScatterToStripedOpiEvPT3_j ; -- Begin function _Z20warp_exchange_kernelILj256ELj1ELj64E18ScatterToStripedOpiEvPT3_j
	.globl	_Z20warp_exchange_kernelILj256ELj1ELj64E18ScatterToStripedOpiEvPT3_j
	.p2align	8
	.type	_Z20warp_exchange_kernelILj256ELj1ELj64E18ScatterToStripedOpiEvPT3_j,@function
_Z20warp_exchange_kernelILj256ELj1ELj64E18ScatterToStripedOpiEvPT3_j: ; @_Z20warp_exchange_kernelILj256ELj1ELj64E18ScatterToStripedOpiEvPT3_j
; %bb.0:
	s_load_dword s3, s[0:1], 0x8
	s_waitcnt lgkmcnt(0)
	s_cmp_eq_u32 s3, 0
	s_cbranch_scc1 .LBB110_3
; %bb.1:
	v_lshlrev_b32_e32 v2, 2, v0
	v_not_b32_e32 v1, v0
	v_and_b32_e32 v3, 0x300, v2
	v_mbcnt_lo_u32_b32 v2, -1, 0
	v_and_b32_e32 v1, 63, v1
	v_mbcnt_hi_u32_b32 v4, -1, v2
	v_lshl_or_b32 v2, v1, 2, v3
	v_lshl_add_u32 v3, v4, 2, v3
	v_mov_b32_e32 v1, v0
.LBB110_2:                              ; =>This Inner Loop Header: Depth=1
	s_waitcnt lgkmcnt(0)
	ds_write_b32 v2, v1
	; wave barrier
	ds_read_b32 v1, v3
	s_add_i32 s3, s3, -1
	s_cmp_lg_u32 s3, 0
	; wave barrier
	s_cbranch_scc1 .LBB110_2
	s_branch .LBB110_4
.LBB110_3:
	v_mov_b32_e32 v1, v0
.LBB110_4:
	s_load_dwordx2 s[0:1], s[0:1], 0x0
	v_lshl_or_b32 v2, s2, 8, v0
	v_mov_b32_e32 v3, 0
	s_waitcnt lgkmcnt(0)
	v_lshl_add_u64 v[2:3], v[2:3], 2, s[0:1]
	global_store_dword v[2:3], v1, off
	s_endpgm
	.section	.rodata,"a",@progbits
	.p2align	6, 0x0
	.amdhsa_kernel _Z20warp_exchange_kernelILj256ELj1ELj64E18ScatterToStripedOpiEvPT3_j
		.amdhsa_group_segment_fixed_size 1024
		.amdhsa_private_segment_fixed_size 0
		.amdhsa_kernarg_size 12
		.amdhsa_user_sgpr_count 2
		.amdhsa_user_sgpr_dispatch_ptr 0
		.amdhsa_user_sgpr_queue_ptr 0
		.amdhsa_user_sgpr_kernarg_segment_ptr 1
		.amdhsa_user_sgpr_dispatch_id 0
		.amdhsa_user_sgpr_kernarg_preload_length 0
		.amdhsa_user_sgpr_kernarg_preload_offset 0
		.amdhsa_user_sgpr_private_segment_size 0
		.amdhsa_uses_dynamic_stack 0
		.amdhsa_enable_private_segment 0
		.amdhsa_system_sgpr_workgroup_id_x 1
		.amdhsa_system_sgpr_workgroup_id_y 0
		.amdhsa_system_sgpr_workgroup_id_z 0
		.amdhsa_system_sgpr_workgroup_info 0
		.amdhsa_system_vgpr_workitem_id 0
		.amdhsa_next_free_vgpr 5
		.amdhsa_next_free_sgpr 4
		.amdhsa_accum_offset 8
		.amdhsa_reserve_vcc 0
		.amdhsa_float_round_mode_32 0
		.amdhsa_float_round_mode_16_64 0
		.amdhsa_float_denorm_mode_32 3
		.amdhsa_float_denorm_mode_16_64 3
		.amdhsa_dx10_clamp 1
		.amdhsa_ieee_mode 1
		.amdhsa_fp16_overflow 0
		.amdhsa_tg_split 0
		.amdhsa_exception_fp_ieee_invalid_op 0
		.amdhsa_exception_fp_denorm_src 0
		.amdhsa_exception_fp_ieee_div_zero 0
		.amdhsa_exception_fp_ieee_overflow 0
		.amdhsa_exception_fp_ieee_underflow 0
		.amdhsa_exception_fp_ieee_inexact 0
		.amdhsa_exception_int_div_zero 0
	.end_amdhsa_kernel
	.section	.text._Z20warp_exchange_kernelILj256ELj1ELj64E18ScatterToStripedOpiEvPT3_j,"axG",@progbits,_Z20warp_exchange_kernelILj256ELj1ELj64E18ScatterToStripedOpiEvPT3_j,comdat
.Lfunc_end110:
	.size	_Z20warp_exchange_kernelILj256ELj1ELj64E18ScatterToStripedOpiEvPT3_j, .Lfunc_end110-_Z20warp_exchange_kernelILj256ELj1ELj64E18ScatterToStripedOpiEvPT3_j
                                        ; -- End function
	.section	.AMDGPU.csdata,"",@progbits
; Kernel info:
; codeLenInByte = 160
; NumSgprs: 10
; NumVgprs: 5
; NumAgprs: 0
; TotalNumVgprs: 5
; ScratchSize: 0
; MemoryBound: 0
; FloatMode: 240
; IeeeMode: 1
; LDSByteSize: 1024 bytes/workgroup (compile time only)
; SGPRBlocks: 1
; VGPRBlocks: 0
; NumSGPRsForWavesPerEU: 10
; NumVGPRsForWavesPerEU: 5
; AccumOffset: 8
; Occupancy: 8
; WaveLimiterHint : 0
; COMPUTE_PGM_RSRC2:SCRATCH_EN: 0
; COMPUTE_PGM_RSRC2:USER_SGPR: 2
; COMPUTE_PGM_RSRC2:TRAP_HANDLER: 0
; COMPUTE_PGM_RSRC2:TGID_X_EN: 1
; COMPUTE_PGM_RSRC2:TGID_Y_EN: 0
; COMPUTE_PGM_RSRC2:TGID_Z_EN: 0
; COMPUTE_PGM_RSRC2:TIDIG_COMP_CNT: 0
; COMPUTE_PGM_RSRC3_GFX90A:ACCUM_OFFSET: 1
; COMPUTE_PGM_RSRC3_GFX90A:TG_SPLIT: 0
	.section	.text._Z20warp_exchange_kernelILj256ELj4ELj64E18ScatterToStripedOpiEvPT3_j,"axG",@progbits,_Z20warp_exchange_kernelILj256ELj4ELj64E18ScatterToStripedOpiEvPT3_j,comdat
	.protected	_Z20warp_exchange_kernelILj256ELj4ELj64E18ScatterToStripedOpiEvPT3_j ; -- Begin function _Z20warp_exchange_kernelILj256ELj4ELj64E18ScatterToStripedOpiEvPT3_j
	.globl	_Z20warp_exchange_kernelILj256ELj4ELj64E18ScatterToStripedOpiEvPT3_j
	.p2align	8
	.type	_Z20warp_exchange_kernelILj256ELj4ELj64E18ScatterToStripedOpiEvPT3_j,@function
_Z20warp_exchange_kernelILj256ELj4ELj64E18ScatterToStripedOpiEvPT3_j: ; @_Z20warp_exchange_kernelILj256ELj4ELj64E18ScatterToStripedOpiEvPT3_j
; %bb.0:
	s_load_dword s3, s[0:1], 0x8
	v_lshlrev_b32_e32 v2, 2, v0
	v_or_b32_e32 v7, 1, v2
	v_or_b32_e32 v4, 2, v2
	;; [unrolled: 1-line block ×3, first 2 shown]
	s_waitcnt lgkmcnt(0)
	s_cmp_eq_u32 s3, 0
	s_cbranch_scc1 .LBB111_4
; %bb.1:
	v_and_b32_e32 v1, 0xfc, v2
	v_lshlrev_b32_e32 v0, 4, v0
	v_xor_b32_e32 v3, 0xfc, v1
	v_and_b32_e32 v6, 0xc00, v0
	v_mbcnt_lo_u32_b32 v8, -1, 0
	v_lshl_or_b32 v0, v3, 2, v6
	v_mbcnt_hi_u32_b32 v3, -1, v8
	v_lshl_or_b32 v1, v1, 2, v6
	v_lshl_or_b32 v3, v3, 2, v6
	v_mov_b32_e32 v6, v2
.LBB111_2:                              ; =>This Inner Loop Header: Depth=1
	s_waitcnt lgkmcnt(1)
	ds_write_b32 v0, v6
	ds_write_b32 v1, v7 offset:4
	s_waitcnt lgkmcnt(2)
	ds_write_b32 v0, v4 offset:8
	ds_write_b32 v1, v5 offset:12
	; wave barrier
	ds_read2st64_b32 v[6:7], v3 offset1:1
	ds_read2st64_b32 v[4:5], v3 offset0:2 offset1:3
	s_add_i32 s3, s3, -1
	s_cmp_lg_u32 s3, 0
	; wave barrier
	s_cbranch_scc1 .LBB111_2
; %bb.3:
	s_waitcnt lgkmcnt(0)
	v_mov_b32_e32 v8, v4
	v_mov_b32_e32 v9, v5
	s_branch .LBB111_5
.LBB111_4:
	v_mov_b32_e32 v3, v7
	v_mov_b64_e32 v[8:9], v[4:5]
	v_mov_b64_e32 v[6:7], v[2:3]
.LBB111_5:
	s_load_dwordx2 s[0:1], s[0:1], 0x0
	v_lshl_or_b32 v0, s2, 10, v2
	v_mov_b32_e32 v1, 0
	s_waitcnt lgkmcnt(0)
	v_lshl_add_u64 v[0:1], v[0:1], 2, s[0:1]
	global_store_dwordx4 v[0:1], v[6:9], off
	s_endpgm
	.section	.rodata,"a",@progbits
	.p2align	6, 0x0
	.amdhsa_kernel _Z20warp_exchange_kernelILj256ELj4ELj64E18ScatterToStripedOpiEvPT3_j
		.amdhsa_group_segment_fixed_size 4096
		.amdhsa_private_segment_fixed_size 0
		.amdhsa_kernarg_size 12
		.amdhsa_user_sgpr_count 2
		.amdhsa_user_sgpr_dispatch_ptr 0
		.amdhsa_user_sgpr_queue_ptr 0
		.amdhsa_user_sgpr_kernarg_segment_ptr 1
		.amdhsa_user_sgpr_dispatch_id 0
		.amdhsa_user_sgpr_kernarg_preload_length 0
		.amdhsa_user_sgpr_kernarg_preload_offset 0
		.amdhsa_user_sgpr_private_segment_size 0
		.amdhsa_uses_dynamic_stack 0
		.amdhsa_enable_private_segment 0
		.amdhsa_system_sgpr_workgroup_id_x 1
		.amdhsa_system_sgpr_workgroup_id_y 0
		.amdhsa_system_sgpr_workgroup_id_z 0
		.amdhsa_system_sgpr_workgroup_info 0
		.amdhsa_system_vgpr_workitem_id 0
		.amdhsa_next_free_vgpr 10
		.amdhsa_next_free_sgpr 4
		.amdhsa_accum_offset 12
		.amdhsa_reserve_vcc 0
		.amdhsa_float_round_mode_32 0
		.amdhsa_float_round_mode_16_64 0
		.amdhsa_float_denorm_mode_32 3
		.amdhsa_float_denorm_mode_16_64 3
		.amdhsa_dx10_clamp 1
		.amdhsa_ieee_mode 1
		.amdhsa_fp16_overflow 0
		.amdhsa_tg_split 0
		.amdhsa_exception_fp_ieee_invalid_op 0
		.amdhsa_exception_fp_denorm_src 0
		.amdhsa_exception_fp_ieee_div_zero 0
		.amdhsa_exception_fp_ieee_overflow 0
		.amdhsa_exception_fp_ieee_underflow 0
		.amdhsa_exception_fp_ieee_inexact 0
		.amdhsa_exception_int_div_zero 0
	.end_amdhsa_kernel
	.section	.text._Z20warp_exchange_kernelILj256ELj4ELj64E18ScatterToStripedOpiEvPT3_j,"axG",@progbits,_Z20warp_exchange_kernelILj256ELj4ELj64E18ScatterToStripedOpiEvPT3_j,comdat
.Lfunc_end111:
	.size	_Z20warp_exchange_kernelILj256ELj4ELj64E18ScatterToStripedOpiEvPT3_j, .Lfunc_end111-_Z20warp_exchange_kernelILj256ELj4ELj64E18ScatterToStripedOpiEvPT3_j
                                        ; -- End function
	.section	.AMDGPU.csdata,"",@progbits
; Kernel info:
; codeLenInByte = 248
; NumSgprs: 10
; NumVgprs: 10
; NumAgprs: 0
; TotalNumVgprs: 10
; ScratchSize: 0
; MemoryBound: 0
; FloatMode: 240
; IeeeMode: 1
; LDSByteSize: 4096 bytes/workgroup (compile time only)
; SGPRBlocks: 1
; VGPRBlocks: 1
; NumSGPRsForWavesPerEU: 10
; NumVGPRsForWavesPerEU: 10
; AccumOffset: 12
; Occupancy: 8
; WaveLimiterHint : 0
; COMPUTE_PGM_RSRC2:SCRATCH_EN: 0
; COMPUTE_PGM_RSRC2:USER_SGPR: 2
; COMPUTE_PGM_RSRC2:TRAP_HANDLER: 0
; COMPUTE_PGM_RSRC2:TGID_X_EN: 1
; COMPUTE_PGM_RSRC2:TGID_Y_EN: 0
; COMPUTE_PGM_RSRC2:TGID_Z_EN: 0
; COMPUTE_PGM_RSRC2:TIDIG_COMP_CNT: 0
; COMPUTE_PGM_RSRC3_GFX90A:ACCUM_OFFSET: 2
; COMPUTE_PGM_RSRC3_GFX90A:TG_SPLIT: 0
	.section	.text._Z20warp_exchange_kernelILj256ELj16ELj64E18ScatterToStripedOpiEvPT3_j,"axG",@progbits,_Z20warp_exchange_kernelILj256ELj16ELj64E18ScatterToStripedOpiEvPT3_j,comdat
	.protected	_Z20warp_exchange_kernelILj256ELj16ELj64E18ScatterToStripedOpiEvPT3_j ; -- Begin function _Z20warp_exchange_kernelILj256ELj16ELj64E18ScatterToStripedOpiEvPT3_j
	.globl	_Z20warp_exchange_kernelILj256ELj16ELj64E18ScatterToStripedOpiEvPT3_j
	.p2align	8
	.type	_Z20warp_exchange_kernelILj256ELj16ELj64E18ScatterToStripedOpiEvPT3_j,@function
_Z20warp_exchange_kernelILj256ELj16ELj64E18ScatterToStripedOpiEvPT3_j: ; @_Z20warp_exchange_kernelILj256ELj16ELj64E18ScatterToStripedOpiEvPT3_j
; %bb.0:
	s_load_dword s3, s[0:1], 0x8
	v_lshlrev_b32_e32 v16, 4, v0
	v_or_b32_e32 v17, 1, v16
	v_or_b32_e32 v18, 2, v16
	;; [unrolled: 1-line block ×14, first 2 shown]
	s_waitcnt lgkmcnt(0)
	s_cmp_lg_u32 s3, 0
	v_or_b32_e32 v31, 15, v16
	s_cbranch_scc0 .LBB112_6
; %bb.1:
	v_and_b32_e32 v1, 0x3f0, v16
	v_lshlrev_b32_e32 v0, 6, v0
	v_mbcnt_lo_u32_b32 v3, -1, 0
	v_xor_b32_e32 v2, 0x3f0, v1
	v_and_b32_e32 v0, 0x3000, v0
	v_mbcnt_hi_u32_b32 v3, -1, v3
	v_lshl_or_b32 v32, v3, 2, v0
	v_lshl_or_b32 v33, v2, 2, v0
	;; [unrolled: 1-line block ×3, first 2 shown]
	v_mov_b32_e32 v8, v16
	v_mov_b32_e32 v9, v17
	;; [unrolled: 1-line block ×16, first 2 shown]
.LBB112_2:                              ; =>This Inner Loop Header: Depth=1
	s_waitcnt lgkmcnt(7)
	ds_write_b32 v33, v8
	ds_write_b32 v34, v9 offset:4
	s_waitcnt lgkmcnt(8)
	ds_write_b32 v33, v10 offset:8
	ds_write_b32 v34, v11 offset:12
	s_waitcnt lgkmcnt(9)
	ds_write_b32 v33, v12 offset:16
	;; [unrolled: 3-line block ×7, first 2 shown]
	ds_write_b32 v34, v3 offset:60
	; wave barrier
	ds_read2st64_b32 v[8:9], v32 offset1:1
	ds_read2st64_b32 v[10:11], v32 offset0:2 offset1:3
	ds_read2st64_b32 v[12:13], v32 offset0:4 offset1:5
	;; [unrolled: 1-line block ×7, first 2 shown]
	s_add_i32 s3, s3, -1
	s_cmp_lg_u32 s3, 0
	; wave barrier
	s_cbranch_scc1 .LBB112_2
; %bb.3:
	s_branch .LBB112_5
.LBB112_4:
	s_waitcnt lgkmcnt(6)
	v_mov_b64_e32 v[10:11], v[18:19]
	s_waitcnt lgkmcnt(5)
	v_mov_b64_e32 v[12:13], v[20:21]
	;; [unrolled: 2-line block ×7, first 2 shown]
	v_mov_b64_e32 v[8:9], v[16:17]
.LBB112_5:
	s_load_dwordx2 s[0:1], s[0:1], 0x0
	v_lshl_or_b32 v16, s2, 12, v16
	v_mov_b32_e32 v17, 0
	s_waitcnt lgkmcnt(0)
	v_lshl_add_u64 v[16:17], v[16:17], 2, s[0:1]
	global_store_dwordx4 v[16:17], v[8:11], off
	global_store_dwordx4 v[16:17], v[12:15], off offset:16
	global_store_dwordx4 v[16:17], v[4:7], off offset:32
	global_store_dwordx4 v[16:17], v[0:3], off offset:48
	s_endpgm
.LBB112_6:
                                        ; implicit-def: $vgpr8_vgpr9
                                        ; implicit-def: $vgpr2_vgpr3
                                        ; implicit-def: $vgpr6_vgpr7
                                        ; implicit-def: $vgpr14_vgpr15
	s_cbranch_execnz .LBB112_4
	s_branch .LBB112_5
	.section	.rodata,"a",@progbits
	.p2align	6, 0x0
	.amdhsa_kernel _Z20warp_exchange_kernelILj256ELj16ELj64E18ScatterToStripedOpiEvPT3_j
		.amdhsa_group_segment_fixed_size 16384
		.amdhsa_private_segment_fixed_size 0
		.amdhsa_kernarg_size 12
		.amdhsa_user_sgpr_count 2
		.amdhsa_user_sgpr_dispatch_ptr 0
		.amdhsa_user_sgpr_queue_ptr 0
		.amdhsa_user_sgpr_kernarg_segment_ptr 1
		.amdhsa_user_sgpr_dispatch_id 0
		.amdhsa_user_sgpr_kernarg_preload_length 0
		.amdhsa_user_sgpr_kernarg_preload_offset 0
		.amdhsa_user_sgpr_private_segment_size 0
		.amdhsa_uses_dynamic_stack 0
		.amdhsa_enable_private_segment 0
		.amdhsa_system_sgpr_workgroup_id_x 1
		.amdhsa_system_sgpr_workgroup_id_y 0
		.amdhsa_system_sgpr_workgroup_id_z 0
		.amdhsa_system_sgpr_workgroup_info 0
		.amdhsa_system_vgpr_workitem_id 0
		.amdhsa_next_free_vgpr 35
		.amdhsa_next_free_sgpr 4
		.amdhsa_accum_offset 36
		.amdhsa_reserve_vcc 0
		.amdhsa_float_round_mode_32 0
		.amdhsa_float_round_mode_16_64 0
		.amdhsa_float_denorm_mode_32 3
		.amdhsa_float_denorm_mode_16_64 3
		.amdhsa_dx10_clamp 1
		.amdhsa_ieee_mode 1
		.amdhsa_fp16_overflow 0
		.amdhsa_tg_split 0
		.amdhsa_exception_fp_ieee_invalid_op 0
		.amdhsa_exception_fp_denorm_src 0
		.amdhsa_exception_fp_ieee_div_zero 0
		.amdhsa_exception_fp_ieee_overflow 0
		.amdhsa_exception_fp_ieee_underflow 0
		.amdhsa_exception_fp_ieee_inexact 0
		.amdhsa_exception_int_div_zero 0
	.end_amdhsa_kernel
	.section	.text._Z20warp_exchange_kernelILj256ELj16ELj64E18ScatterToStripedOpiEvPT3_j,"axG",@progbits,_Z20warp_exchange_kernelILj256ELj16ELj64E18ScatterToStripedOpiEvPT3_j,comdat
.Lfunc_end112:
	.size	_Z20warp_exchange_kernelILj256ELj16ELj64E18ScatterToStripedOpiEvPT3_j, .Lfunc_end112-_Z20warp_exchange_kernelILj256ELj16ELj64E18ScatterToStripedOpiEvPT3_j
                                        ; -- End function
	.section	.AMDGPU.csdata,"",@progbits
; Kernel info:
; codeLenInByte = 592
; NumSgprs: 10
; NumVgprs: 35
; NumAgprs: 0
; TotalNumVgprs: 35
; ScratchSize: 0
; MemoryBound: 0
; FloatMode: 240
; IeeeMode: 1
; LDSByteSize: 16384 bytes/workgroup (compile time only)
; SGPRBlocks: 1
; VGPRBlocks: 4
; NumSGPRsForWavesPerEU: 10
; NumVGPRsForWavesPerEU: 35
; AccumOffset: 36
; Occupancy: 4
; WaveLimiterHint : 0
; COMPUTE_PGM_RSRC2:SCRATCH_EN: 0
; COMPUTE_PGM_RSRC2:USER_SGPR: 2
; COMPUTE_PGM_RSRC2:TRAP_HANDLER: 0
; COMPUTE_PGM_RSRC2:TGID_X_EN: 1
; COMPUTE_PGM_RSRC2:TGID_Y_EN: 0
; COMPUTE_PGM_RSRC2:TGID_Z_EN: 0
; COMPUTE_PGM_RSRC2:TIDIG_COMP_CNT: 0
; COMPUTE_PGM_RSRC3_GFX90A:ACCUM_OFFSET: 8
; COMPUTE_PGM_RSRC3_GFX90A:TG_SPLIT: 0
	.section	.text._Z20warp_exchange_kernelILj256ELj1ELj64EN6common18BlockedToStripedOpEnEvPT3_j,"axG",@progbits,_Z20warp_exchange_kernelILj256ELj1ELj64EN6common18BlockedToStripedOpEnEvPT3_j,comdat
	.protected	_Z20warp_exchange_kernelILj256ELj1ELj64EN6common18BlockedToStripedOpEnEvPT3_j ; -- Begin function _Z20warp_exchange_kernelILj256ELj1ELj64EN6common18BlockedToStripedOpEnEvPT3_j
	.globl	_Z20warp_exchange_kernelILj256ELj1ELj64EN6common18BlockedToStripedOpEnEvPT3_j
	.p2align	8
	.type	_Z20warp_exchange_kernelILj256ELj1ELj64EN6common18BlockedToStripedOpEnEvPT3_j,@function
_Z20warp_exchange_kernelILj256ELj1ELj64EN6common18BlockedToStripedOpEnEvPT3_j: ; @_Z20warp_exchange_kernelILj256ELj1ELj64EN6common18BlockedToStripedOpEnEvPT3_j
; %bb.0:
	s_load_dword s3, s[0:1], 0x8
	v_mov_b32_e32 v1, 0
	v_mov_b64_e32 v[4:5], 0
	s_waitcnt lgkmcnt(0)
	s_cmp_eq_u32 s3, 0
	s_cbranch_scc1 .LBB113_3
; %bb.1:
	v_lshlrev_b32_e32 v2, 4, v0
	v_mbcnt_lo_u32_b32 v3, -1, 0
	v_and_b32_e32 v2, 0xc00, v2
	v_mbcnt_hi_u32_b32 v3, -1, v3
	v_lshl_add_u32 v6, v3, 4, v2
	v_mov_b64_e32 v[2:3], v[0:1]
.LBB113_2:                              ; =>This Inner Loop Header: Depth=1
	s_waitcnt lgkmcnt(0)
	ds_write_b128 v6, v[2:5]
	; wave barrier
	ds_read_b128 v[2:5], v6
	s_add_i32 s3, s3, -1
	s_cmp_lg_u32 s3, 0
	; wave barrier
	s_cbranch_scc1 .LBB113_2
	s_branch .LBB113_4
.LBB113_3:
	v_mov_b64_e32 v[2:3], v[0:1]
.LBB113_4:
	s_load_dwordx2 s[0:1], s[0:1], 0x0
	v_lshl_or_b32 v0, s2, 8, v0
	v_mov_b32_e32 v1, 0
	s_waitcnt lgkmcnt(0)
	v_lshl_add_u64 v[0:1], v[0:1], 4, s[0:1]
	global_store_dwordx4 v[0:1], v[2:5], off
	s_endpgm
	.section	.rodata,"a",@progbits
	.p2align	6, 0x0
	.amdhsa_kernel _Z20warp_exchange_kernelILj256ELj1ELj64EN6common18BlockedToStripedOpEnEvPT3_j
		.amdhsa_group_segment_fixed_size 4096
		.amdhsa_private_segment_fixed_size 0
		.amdhsa_kernarg_size 12
		.amdhsa_user_sgpr_count 2
		.amdhsa_user_sgpr_dispatch_ptr 0
		.amdhsa_user_sgpr_queue_ptr 0
		.amdhsa_user_sgpr_kernarg_segment_ptr 1
		.amdhsa_user_sgpr_dispatch_id 0
		.amdhsa_user_sgpr_kernarg_preload_length 0
		.amdhsa_user_sgpr_kernarg_preload_offset 0
		.amdhsa_user_sgpr_private_segment_size 0
		.amdhsa_uses_dynamic_stack 0
		.amdhsa_enable_private_segment 0
		.amdhsa_system_sgpr_workgroup_id_x 1
		.amdhsa_system_sgpr_workgroup_id_y 0
		.amdhsa_system_sgpr_workgroup_id_z 0
		.amdhsa_system_sgpr_workgroup_info 0
		.amdhsa_system_vgpr_workitem_id 0
		.amdhsa_next_free_vgpr 7
		.amdhsa_next_free_sgpr 4
		.amdhsa_accum_offset 8
		.amdhsa_reserve_vcc 0
		.amdhsa_float_round_mode_32 0
		.amdhsa_float_round_mode_16_64 0
		.amdhsa_float_denorm_mode_32 3
		.amdhsa_float_denorm_mode_16_64 3
		.amdhsa_dx10_clamp 1
		.amdhsa_ieee_mode 1
		.amdhsa_fp16_overflow 0
		.amdhsa_tg_split 0
		.amdhsa_exception_fp_ieee_invalid_op 0
		.amdhsa_exception_fp_denorm_src 0
		.amdhsa_exception_fp_ieee_div_zero 0
		.amdhsa_exception_fp_ieee_overflow 0
		.amdhsa_exception_fp_ieee_underflow 0
		.amdhsa_exception_fp_ieee_inexact 0
		.amdhsa_exception_int_div_zero 0
	.end_amdhsa_kernel
	.section	.text._Z20warp_exchange_kernelILj256ELj1ELj64EN6common18BlockedToStripedOpEnEvPT3_j,"axG",@progbits,_Z20warp_exchange_kernelILj256ELj1ELj64EN6common18BlockedToStripedOpEnEvPT3_j,comdat
.Lfunc_end113:
	.size	_Z20warp_exchange_kernelILj256ELj1ELj64EN6common18BlockedToStripedOpEnEvPT3_j, .Lfunc_end113-_Z20warp_exchange_kernelILj256ELj1ELj64EN6common18BlockedToStripedOpEnEvPT3_j
                                        ; -- End function
	.section	.AMDGPU.csdata,"",@progbits
; Kernel info:
; codeLenInByte = 152
; NumSgprs: 10
; NumVgprs: 7
; NumAgprs: 0
; TotalNumVgprs: 7
; ScratchSize: 0
; MemoryBound: 0
; FloatMode: 240
; IeeeMode: 1
; LDSByteSize: 4096 bytes/workgroup (compile time only)
; SGPRBlocks: 1
; VGPRBlocks: 0
; NumSGPRsForWavesPerEU: 10
; NumVGPRsForWavesPerEU: 7
; AccumOffset: 8
; Occupancy: 8
; WaveLimiterHint : 0
; COMPUTE_PGM_RSRC2:SCRATCH_EN: 0
; COMPUTE_PGM_RSRC2:USER_SGPR: 2
; COMPUTE_PGM_RSRC2:TRAP_HANDLER: 0
; COMPUTE_PGM_RSRC2:TGID_X_EN: 1
; COMPUTE_PGM_RSRC2:TGID_Y_EN: 0
; COMPUTE_PGM_RSRC2:TGID_Z_EN: 0
; COMPUTE_PGM_RSRC2:TIDIG_COMP_CNT: 0
; COMPUTE_PGM_RSRC3_GFX90A:ACCUM_OFFSET: 1
; COMPUTE_PGM_RSRC3_GFX90A:TG_SPLIT: 0
	.section	.text._Z20warp_exchange_kernelILj256ELj4ELj64EN6common18BlockedToStripedOpEnEvPT3_j,"axG",@progbits,_Z20warp_exchange_kernelILj256ELj4ELj64EN6common18BlockedToStripedOpEnEvPT3_j,comdat
	.protected	_Z20warp_exchange_kernelILj256ELj4ELj64EN6common18BlockedToStripedOpEnEvPT3_j ; -- Begin function _Z20warp_exchange_kernelILj256ELj4ELj64EN6common18BlockedToStripedOpEnEvPT3_j
	.globl	_Z20warp_exchange_kernelILj256ELj4ELj64EN6common18BlockedToStripedOpEnEvPT3_j
	.p2align	8
	.type	_Z20warp_exchange_kernelILj256ELj4ELj64EN6common18BlockedToStripedOpEnEvPT3_j,@function
_Z20warp_exchange_kernelILj256ELj4ELj64EN6common18BlockedToStripedOpEnEvPT3_j: ; @_Z20warp_exchange_kernelILj256ELj4ELj64EN6common18BlockedToStripedOpEnEvPT3_j
; %bb.0:
	s_load_dword s3, s[0:1], 0x8
	v_lshlrev_b32_e32 v18, 2, v0
	v_or_b32_e32 v10, 1, v18
	v_or_b32_e32 v6, 2, v18
	;; [unrolled: 1-line block ×3, first 2 shown]
	s_waitcnt lgkmcnt(0)
	s_cmp_eq_u32 s3, 0
	s_cbranch_scc1 .LBB114_3
; %bb.1:
	v_lshlrev_b32_e32 v0, 6, v0
	v_mov_b32_e32 v3, 0
	v_and_b32_e32 v1, 0x3000, v0
	v_mbcnt_lo_u32_b32 v0, -1, 0
	v_mov_b64_e32 v[4:5], 0
	v_mov_b32_e32 v19, v3
	v_mbcnt_hi_u32_b32 v8, -1, v0
	v_mov_b64_e32 v[16:17], 0
	v_mov_b32_e32 v7, v3
	v_mov_b32_e32 v11, v3
	v_lshl_add_u32 v0, v8, 6, v1
	v_lshl_or_b32 v1, v8, 4, v1
	v_mov_b64_e32 v[8:9], v[4:5]
	v_mov_b64_e32 v[12:13], v[4:5]
	;; [unrolled: 1-line block ×3, first 2 shown]
.LBB114_2:                              ; =>This Inner Loop Header: Depth=1
	s_waitcnt lgkmcnt(3)
	ds_write_b128 v0, v[14:17]
	s_waitcnt lgkmcnt(3)
	ds_write_b128 v0, v[10:13] offset:16
	s_waitcnt lgkmcnt(3)
	ds_write_b128 v0, v[6:9] offset:32
	;; [unrolled: 2-line block ×3, first 2 shown]
	; wave barrier
	ds_read_b128 v[14:17], v1
	ds_read_b128 v[10:13], v1 offset:1024
	ds_read_b128 v[6:9], v1 offset:2048
	;; [unrolled: 1-line block ×3, first 2 shown]
	s_add_i32 s3, s3, -1
	s_cmp_lg_u32 s3, 0
	; wave barrier
	s_cbranch_scc1 .LBB114_2
	s_branch .LBB114_4
.LBB114_3:
	v_mov_b32_e32 v19, 0
	v_mov_b64_e32 v[16:17], 0
	v_mov_b64_e32 v[4:5], 0
	v_mov_b32_e32 v11, v19
	v_mov_b32_e32 v7, v19
	;; [unrolled: 1-line block ×3, first 2 shown]
	v_mov_b64_e32 v[14:15], v[18:19]
	v_mov_b64_e32 v[12:13], v[16:17]
	v_mov_b64_e32 v[8:9], v[16:17]
.LBB114_4:
	s_load_dwordx2 s[0:1], s[0:1], 0x0
	v_lshl_or_b32 v0, s2, 10, v18
	v_mov_b32_e32 v1, 0
	s_waitcnt lgkmcnt(0)
	v_lshl_add_u64 v[0:1], v[0:1], 4, s[0:1]
	global_store_dwordx4 v[0:1], v[14:17], off
	global_store_dwordx4 v[0:1], v[10:13], off offset:16
	global_store_dwordx4 v[0:1], v[6:9], off offset:32
	;; [unrolled: 1-line block ×3, first 2 shown]
	s_endpgm
	.section	.rodata,"a",@progbits
	.p2align	6, 0x0
	.amdhsa_kernel _Z20warp_exchange_kernelILj256ELj4ELj64EN6common18BlockedToStripedOpEnEvPT3_j
		.amdhsa_group_segment_fixed_size 16384
		.amdhsa_private_segment_fixed_size 0
		.amdhsa_kernarg_size 12
		.amdhsa_user_sgpr_count 2
		.amdhsa_user_sgpr_dispatch_ptr 0
		.amdhsa_user_sgpr_queue_ptr 0
		.amdhsa_user_sgpr_kernarg_segment_ptr 1
		.amdhsa_user_sgpr_dispatch_id 0
		.amdhsa_user_sgpr_kernarg_preload_length 0
		.amdhsa_user_sgpr_kernarg_preload_offset 0
		.amdhsa_user_sgpr_private_segment_size 0
		.amdhsa_uses_dynamic_stack 0
		.amdhsa_enable_private_segment 0
		.amdhsa_system_sgpr_workgroup_id_x 1
		.amdhsa_system_sgpr_workgroup_id_y 0
		.amdhsa_system_sgpr_workgroup_id_z 0
		.amdhsa_system_sgpr_workgroup_info 0
		.amdhsa_system_vgpr_workitem_id 0
		.amdhsa_next_free_vgpr 20
		.amdhsa_next_free_sgpr 4
		.amdhsa_accum_offset 20
		.amdhsa_reserve_vcc 0
		.amdhsa_float_round_mode_32 0
		.amdhsa_float_round_mode_16_64 0
		.amdhsa_float_denorm_mode_32 3
		.amdhsa_float_denorm_mode_16_64 3
		.amdhsa_dx10_clamp 1
		.amdhsa_ieee_mode 1
		.amdhsa_fp16_overflow 0
		.amdhsa_tg_split 0
		.amdhsa_exception_fp_ieee_invalid_op 0
		.amdhsa_exception_fp_denorm_src 0
		.amdhsa_exception_fp_ieee_div_zero 0
		.amdhsa_exception_fp_ieee_overflow 0
		.amdhsa_exception_fp_ieee_underflow 0
		.amdhsa_exception_fp_ieee_inexact 0
		.amdhsa_exception_int_div_zero 0
	.end_amdhsa_kernel
	.section	.text._Z20warp_exchange_kernelILj256ELj4ELj64EN6common18BlockedToStripedOpEnEvPT3_j,"axG",@progbits,_Z20warp_exchange_kernelILj256ELj4ELj64EN6common18BlockedToStripedOpEnEvPT3_j,comdat
.Lfunc_end114:
	.size	_Z20warp_exchange_kernelILj256ELj4ELj64EN6common18BlockedToStripedOpEnEvPT3_j, .Lfunc_end114-_Z20warp_exchange_kernelILj256ELj4ELj64EN6common18BlockedToStripedOpEnEvPT3_j
                                        ; -- End function
	.section	.AMDGPU.csdata,"",@progbits
; Kernel info:
; codeLenInByte = 316
; NumSgprs: 10
; NumVgprs: 20
; NumAgprs: 0
; TotalNumVgprs: 20
; ScratchSize: 0
; MemoryBound: 0
; FloatMode: 240
; IeeeMode: 1
; LDSByteSize: 16384 bytes/workgroup (compile time only)
; SGPRBlocks: 1
; VGPRBlocks: 2
; NumSGPRsForWavesPerEU: 10
; NumVGPRsForWavesPerEU: 20
; AccumOffset: 20
; Occupancy: 4
; WaveLimiterHint : 0
; COMPUTE_PGM_RSRC2:SCRATCH_EN: 0
; COMPUTE_PGM_RSRC2:USER_SGPR: 2
; COMPUTE_PGM_RSRC2:TRAP_HANDLER: 0
; COMPUTE_PGM_RSRC2:TGID_X_EN: 1
; COMPUTE_PGM_RSRC2:TGID_Y_EN: 0
; COMPUTE_PGM_RSRC2:TGID_Z_EN: 0
; COMPUTE_PGM_RSRC2:TIDIG_COMP_CNT: 0
; COMPUTE_PGM_RSRC3_GFX90A:ACCUM_OFFSET: 4
; COMPUTE_PGM_RSRC3_GFX90A:TG_SPLIT: 0
	.section	.text._Z20warp_exchange_kernelILj256ELj16ELj64EN6common18BlockedToStripedOpEnEvPT3_j,"axG",@progbits,_Z20warp_exchange_kernelILj256ELj16ELj64EN6common18BlockedToStripedOpEnEvPT3_j,comdat
	.protected	_Z20warp_exchange_kernelILj256ELj16ELj64EN6common18BlockedToStripedOpEnEvPT3_j ; -- Begin function _Z20warp_exchange_kernelILj256ELj16ELj64EN6common18BlockedToStripedOpEnEvPT3_j
	.globl	_Z20warp_exchange_kernelILj256ELj16ELj64EN6common18BlockedToStripedOpEnEvPT3_j
	.p2align	8
	.type	_Z20warp_exchange_kernelILj256ELj16ELj64EN6common18BlockedToStripedOpEnEvPT3_j,@function
_Z20warp_exchange_kernelILj256ELj16ELj64EN6common18BlockedToStripedOpEnEvPT3_j: ; @_Z20warp_exchange_kernelILj256ELj16ELj64EN6common18BlockedToStripedOpEnEvPT3_j
; %bb.0:
	s_load_dword s3, s[0:1], 0x8
	v_lshlrev_b32_e32 v66, 4, v0
	v_or_b32_e32 v58, 1, v66
	v_or_b32_e32 v54, 2, v66
	;; [unrolled: 1-line block ×14, first 2 shown]
	s_waitcnt lgkmcnt(0)
	s_cmp_eq_u32 s3, 0
	v_or_b32_e32 v2, 15, v66
	s_cbranch_scc1 .LBB115_3
; %bb.1:
	v_lshlrev_b32_e32 v0, 8, v0
	v_mov_b32_e32 v3, 0
	v_and_b32_e32 v1, 0xc000, v0
	v_mbcnt_lo_u32_b32 v0, -1, 0
	v_mov_b64_e32 v[4:5], 0
	v_mov_b32_e32 v67, v3
	v_mbcnt_hi_u32_b32 v8, -1, v0
	v_mov_b64_e32 v[64:65], 0
	v_mov_b32_e32 v7, v3
	v_mov_b32_e32 v11, v3
	;; [unrolled: 1-line block ×14, first 2 shown]
	v_lshl_add_u32 v0, v8, 8, v1
	v_lshl_or_b32 v1, v8, 4, v1
	v_mov_b64_e32 v[8:9], v[4:5]
	v_mov_b64_e32 v[12:13], v[4:5]
	;; [unrolled: 1-line block ×15, first 2 shown]
.LBB115_2:                              ; =>This Inner Loop Header: Depth=1
	s_waitcnt lgkmcnt(14)
	ds_write_b128 v0, v[62:65]
	ds_write_b128 v0, v[58:61] offset:16
	s_waitcnt lgkmcnt(14)
	ds_write_b128 v0, v[54:57] offset:32
	ds_write_b128 v0, v[50:53] offset:48
	s_waitcnt lgkmcnt(14)
	ds_write_b128 v0, v[46:49] offset:64
	;; [unrolled: 3-line block ×7, first 2 shown]
	ds_write_b128 v0, v[2:5] offset:240
	; wave barrier
	ds_read_b128 v[62:65], v1
	ds_read_b128 v[58:61], v1 offset:1024
	ds_read_b128 v[54:57], v1 offset:2048
	;; [unrolled: 1-line block ×15, first 2 shown]
	s_add_i32 s3, s3, -1
	s_cmp_lg_u32 s3, 0
	; wave barrier
	s_cbranch_scc1 .LBB115_2
	s_branch .LBB115_4
.LBB115_3:
	v_mov_b32_e32 v67, 0
	v_mov_b64_e32 v[64:65], 0
	v_mov_b64_e32 v[4:5], 0
	v_mov_b32_e32 v59, v67
	v_mov_b32_e32 v55, v67
	;; [unrolled: 1-line block ×15, first 2 shown]
	v_mov_b64_e32 v[62:63], v[66:67]
	v_mov_b64_e32 v[60:61], v[64:65]
	;; [unrolled: 1-line block ×15, first 2 shown]
.LBB115_4:
	s_load_dwordx2 s[0:1], s[0:1], 0x0
	v_lshl_or_b32 v0, s2, 12, v66
	v_mov_b32_e32 v1, 0
	s_waitcnt lgkmcnt(0)
	v_lshl_add_u64 v[0:1], v[0:1], 4, s[0:1]
	global_store_dwordx4 v[0:1], v[62:65], off
	global_store_dwordx4 v[0:1], v[58:61], off offset:16
	global_store_dwordx4 v[0:1], v[54:57], off offset:32
	;; [unrolled: 1-line block ×15, first 2 shown]
	s_endpgm
	.section	.rodata,"a",@progbits
	.p2align	6, 0x0
	.amdhsa_kernel _Z20warp_exchange_kernelILj256ELj16ELj64EN6common18BlockedToStripedOpEnEvPT3_j
		.amdhsa_group_segment_fixed_size 65536
		.amdhsa_private_segment_fixed_size 0
		.amdhsa_kernarg_size 12
		.amdhsa_user_sgpr_count 2
		.amdhsa_user_sgpr_dispatch_ptr 0
		.amdhsa_user_sgpr_queue_ptr 0
		.amdhsa_user_sgpr_kernarg_segment_ptr 1
		.amdhsa_user_sgpr_dispatch_id 0
		.amdhsa_user_sgpr_kernarg_preload_length 0
		.amdhsa_user_sgpr_kernarg_preload_offset 0
		.amdhsa_user_sgpr_private_segment_size 0
		.amdhsa_uses_dynamic_stack 0
		.amdhsa_enable_private_segment 0
		.amdhsa_system_sgpr_workgroup_id_x 1
		.amdhsa_system_sgpr_workgroup_id_y 0
		.amdhsa_system_sgpr_workgroup_id_z 0
		.amdhsa_system_sgpr_workgroup_info 0
		.amdhsa_system_vgpr_workitem_id 0
		.amdhsa_next_free_vgpr 68
		.amdhsa_next_free_sgpr 4
		.amdhsa_accum_offset 68
		.amdhsa_reserve_vcc 0
		.amdhsa_float_round_mode_32 0
		.amdhsa_float_round_mode_16_64 0
		.amdhsa_float_denorm_mode_32 3
		.amdhsa_float_denorm_mode_16_64 3
		.amdhsa_dx10_clamp 1
		.amdhsa_ieee_mode 1
		.amdhsa_fp16_overflow 0
		.amdhsa_tg_split 0
		.amdhsa_exception_fp_ieee_invalid_op 0
		.amdhsa_exception_fp_denorm_src 0
		.amdhsa_exception_fp_ieee_div_zero 0
		.amdhsa_exception_fp_ieee_overflow 0
		.amdhsa_exception_fp_ieee_underflow 0
		.amdhsa_exception_fp_ieee_inexact 0
		.amdhsa_exception_int_div_zero 0
	.end_amdhsa_kernel
	.section	.text._Z20warp_exchange_kernelILj256ELj16ELj64EN6common18BlockedToStripedOpEnEvPT3_j,"axG",@progbits,_Z20warp_exchange_kernelILj256ELj16ELj64EN6common18BlockedToStripedOpEnEvPT3_j,comdat
.Lfunc_end115:
	.size	_Z20warp_exchange_kernelILj256ELj16ELj64EN6common18BlockedToStripedOpEnEvPT3_j, .Lfunc_end115-_Z20warp_exchange_kernelILj256ELj16ELj64EN6common18BlockedToStripedOpEnEvPT3_j
                                        ; -- End function
	.section	.AMDGPU.csdata,"",@progbits
; Kernel info:
; codeLenInByte = 860
; NumSgprs: 10
; NumVgprs: 68
; NumAgprs: 0
; TotalNumVgprs: 68
; ScratchSize: 0
; MemoryBound: 1
; FloatMode: 240
; IeeeMode: 1
; LDSByteSize: 65536 bytes/workgroup (compile time only)
; SGPRBlocks: 1
; VGPRBlocks: 8
; NumSGPRsForWavesPerEU: 10
; NumVGPRsForWavesPerEU: 68
; AccumOffset: 68
; Occupancy: 1
; WaveLimiterHint : 1
; COMPUTE_PGM_RSRC2:SCRATCH_EN: 0
; COMPUTE_PGM_RSRC2:USER_SGPR: 2
; COMPUTE_PGM_RSRC2:TRAP_HANDLER: 0
; COMPUTE_PGM_RSRC2:TGID_X_EN: 1
; COMPUTE_PGM_RSRC2:TGID_Y_EN: 0
; COMPUTE_PGM_RSRC2:TGID_Z_EN: 0
; COMPUTE_PGM_RSRC2:TIDIG_COMP_CNT: 0
; COMPUTE_PGM_RSRC3_GFX90A:ACCUM_OFFSET: 16
; COMPUTE_PGM_RSRC3_GFX90A:TG_SPLIT: 0
	.section	.text._Z20warp_exchange_kernelILj256ELj1ELj64EN6common18StripedToBlockedOpEnEvPT3_j,"axG",@progbits,_Z20warp_exchange_kernelILj256ELj1ELj64EN6common18StripedToBlockedOpEnEvPT3_j,comdat
	.protected	_Z20warp_exchange_kernelILj256ELj1ELj64EN6common18StripedToBlockedOpEnEvPT3_j ; -- Begin function _Z20warp_exchange_kernelILj256ELj1ELj64EN6common18StripedToBlockedOpEnEvPT3_j
	.globl	_Z20warp_exchange_kernelILj256ELj1ELj64EN6common18StripedToBlockedOpEnEvPT3_j
	.p2align	8
	.type	_Z20warp_exchange_kernelILj256ELj1ELj64EN6common18StripedToBlockedOpEnEvPT3_j,@function
_Z20warp_exchange_kernelILj256ELj1ELj64EN6common18StripedToBlockedOpEnEvPT3_j: ; @_Z20warp_exchange_kernelILj256ELj1ELj64EN6common18StripedToBlockedOpEnEvPT3_j
; %bb.0:
	s_load_dword s3, s[0:1], 0x8
	v_mov_b32_e32 v1, 0
	v_mov_b64_e32 v[4:5], 0
	s_waitcnt lgkmcnt(0)
	s_cmp_eq_u32 s3, 0
	s_cbranch_scc1 .LBB116_3
; %bb.1:
	v_lshlrev_b32_e32 v2, 4, v0
	v_mbcnt_lo_u32_b32 v3, -1, 0
	v_and_b32_e32 v2, 0xc00, v2
	v_mbcnt_hi_u32_b32 v3, -1, v3
	v_lshl_add_u32 v6, v3, 4, v2
	v_mov_b64_e32 v[2:3], v[0:1]
.LBB116_2:                              ; =>This Inner Loop Header: Depth=1
	s_waitcnt lgkmcnt(0)
	ds_write_b128 v6, v[2:5]
	; wave barrier
	ds_read_b128 v[2:5], v6
	s_add_i32 s3, s3, -1
	s_cmp_lg_u32 s3, 0
	; wave barrier
	s_cbranch_scc1 .LBB116_2
	s_branch .LBB116_4
.LBB116_3:
	v_mov_b64_e32 v[2:3], v[0:1]
.LBB116_4:
	s_load_dwordx2 s[0:1], s[0:1], 0x0
	v_lshl_or_b32 v0, s2, 8, v0
	v_mov_b32_e32 v1, 0
	s_waitcnt lgkmcnt(0)
	v_lshl_add_u64 v[0:1], v[0:1], 4, s[0:1]
	global_store_dwordx4 v[0:1], v[2:5], off
	s_endpgm
	.section	.rodata,"a",@progbits
	.p2align	6, 0x0
	.amdhsa_kernel _Z20warp_exchange_kernelILj256ELj1ELj64EN6common18StripedToBlockedOpEnEvPT3_j
		.amdhsa_group_segment_fixed_size 4096
		.amdhsa_private_segment_fixed_size 0
		.amdhsa_kernarg_size 12
		.amdhsa_user_sgpr_count 2
		.amdhsa_user_sgpr_dispatch_ptr 0
		.amdhsa_user_sgpr_queue_ptr 0
		.amdhsa_user_sgpr_kernarg_segment_ptr 1
		.amdhsa_user_sgpr_dispatch_id 0
		.amdhsa_user_sgpr_kernarg_preload_length 0
		.amdhsa_user_sgpr_kernarg_preload_offset 0
		.amdhsa_user_sgpr_private_segment_size 0
		.amdhsa_uses_dynamic_stack 0
		.amdhsa_enable_private_segment 0
		.amdhsa_system_sgpr_workgroup_id_x 1
		.amdhsa_system_sgpr_workgroup_id_y 0
		.amdhsa_system_sgpr_workgroup_id_z 0
		.amdhsa_system_sgpr_workgroup_info 0
		.amdhsa_system_vgpr_workitem_id 0
		.amdhsa_next_free_vgpr 7
		.amdhsa_next_free_sgpr 4
		.amdhsa_accum_offset 8
		.amdhsa_reserve_vcc 0
		.amdhsa_float_round_mode_32 0
		.amdhsa_float_round_mode_16_64 0
		.amdhsa_float_denorm_mode_32 3
		.amdhsa_float_denorm_mode_16_64 3
		.amdhsa_dx10_clamp 1
		.amdhsa_ieee_mode 1
		.amdhsa_fp16_overflow 0
		.amdhsa_tg_split 0
		.amdhsa_exception_fp_ieee_invalid_op 0
		.amdhsa_exception_fp_denorm_src 0
		.amdhsa_exception_fp_ieee_div_zero 0
		.amdhsa_exception_fp_ieee_overflow 0
		.amdhsa_exception_fp_ieee_underflow 0
		.amdhsa_exception_fp_ieee_inexact 0
		.amdhsa_exception_int_div_zero 0
	.end_amdhsa_kernel
	.section	.text._Z20warp_exchange_kernelILj256ELj1ELj64EN6common18StripedToBlockedOpEnEvPT3_j,"axG",@progbits,_Z20warp_exchange_kernelILj256ELj1ELj64EN6common18StripedToBlockedOpEnEvPT3_j,comdat
.Lfunc_end116:
	.size	_Z20warp_exchange_kernelILj256ELj1ELj64EN6common18StripedToBlockedOpEnEvPT3_j, .Lfunc_end116-_Z20warp_exchange_kernelILj256ELj1ELj64EN6common18StripedToBlockedOpEnEvPT3_j
                                        ; -- End function
	.section	.AMDGPU.csdata,"",@progbits
; Kernel info:
; codeLenInByte = 152
; NumSgprs: 10
; NumVgprs: 7
; NumAgprs: 0
; TotalNumVgprs: 7
; ScratchSize: 0
; MemoryBound: 0
; FloatMode: 240
; IeeeMode: 1
; LDSByteSize: 4096 bytes/workgroup (compile time only)
; SGPRBlocks: 1
; VGPRBlocks: 0
; NumSGPRsForWavesPerEU: 10
; NumVGPRsForWavesPerEU: 7
; AccumOffset: 8
; Occupancy: 8
; WaveLimiterHint : 0
; COMPUTE_PGM_RSRC2:SCRATCH_EN: 0
; COMPUTE_PGM_RSRC2:USER_SGPR: 2
; COMPUTE_PGM_RSRC2:TRAP_HANDLER: 0
; COMPUTE_PGM_RSRC2:TGID_X_EN: 1
; COMPUTE_PGM_RSRC2:TGID_Y_EN: 0
; COMPUTE_PGM_RSRC2:TGID_Z_EN: 0
; COMPUTE_PGM_RSRC2:TIDIG_COMP_CNT: 0
; COMPUTE_PGM_RSRC3_GFX90A:ACCUM_OFFSET: 1
; COMPUTE_PGM_RSRC3_GFX90A:TG_SPLIT: 0
	.section	.text._Z20warp_exchange_kernelILj256ELj4ELj64EN6common18StripedToBlockedOpEnEvPT3_j,"axG",@progbits,_Z20warp_exchange_kernelILj256ELj4ELj64EN6common18StripedToBlockedOpEnEvPT3_j,comdat
	.protected	_Z20warp_exchange_kernelILj256ELj4ELj64EN6common18StripedToBlockedOpEnEvPT3_j ; -- Begin function _Z20warp_exchange_kernelILj256ELj4ELj64EN6common18StripedToBlockedOpEnEvPT3_j
	.globl	_Z20warp_exchange_kernelILj256ELj4ELj64EN6common18StripedToBlockedOpEnEvPT3_j
	.p2align	8
	.type	_Z20warp_exchange_kernelILj256ELj4ELj64EN6common18StripedToBlockedOpEnEvPT3_j,@function
_Z20warp_exchange_kernelILj256ELj4ELj64EN6common18StripedToBlockedOpEnEvPT3_j: ; @_Z20warp_exchange_kernelILj256ELj4ELj64EN6common18StripedToBlockedOpEnEvPT3_j
; %bb.0:
	s_load_dword s3, s[0:1], 0x8
	v_lshlrev_b32_e32 v18, 2, v0
	v_or_b32_e32 v10, 1, v18
	v_or_b32_e32 v6, 2, v18
	;; [unrolled: 1-line block ×3, first 2 shown]
	s_waitcnt lgkmcnt(0)
	s_cmp_eq_u32 s3, 0
	s_cbranch_scc1 .LBB117_3
; %bb.1:
	v_lshlrev_b32_e32 v0, 6, v0
	v_mov_b32_e32 v3, 0
	v_and_b32_e32 v1, 0x3000, v0
	v_mbcnt_lo_u32_b32 v0, -1, 0
	v_mov_b64_e32 v[4:5], 0
	v_mov_b32_e32 v19, v3
	v_mbcnt_hi_u32_b32 v8, -1, v0
	v_mov_b64_e32 v[16:17], 0
	v_mov_b32_e32 v7, v3
	v_mov_b32_e32 v11, v3
	v_lshl_or_b32 v0, v8, 4, v1
	v_lshl_add_u32 v1, v8, 6, v1
	v_mov_b64_e32 v[8:9], v[4:5]
	v_mov_b64_e32 v[12:13], v[4:5]
	;; [unrolled: 1-line block ×3, first 2 shown]
.LBB117_2:                              ; =>This Inner Loop Header: Depth=1
	s_waitcnt lgkmcnt(3)
	ds_write_b128 v0, v[14:17]
	s_waitcnt lgkmcnt(3)
	ds_write_b128 v0, v[10:13] offset:1024
	s_waitcnt lgkmcnt(3)
	ds_write_b128 v0, v[6:9] offset:2048
	s_waitcnt lgkmcnt(3)
	ds_write_b128 v0, v[2:5] offset:3072
	; wave barrier
	ds_read_b128 v[14:17], v1
	ds_read_b128 v[10:13], v1 offset:16
	ds_read_b128 v[6:9], v1 offset:32
	;; [unrolled: 1-line block ×3, first 2 shown]
	s_add_i32 s3, s3, -1
	s_cmp_lg_u32 s3, 0
	; wave barrier
	s_cbranch_scc1 .LBB117_2
	s_branch .LBB117_4
.LBB117_3:
	v_mov_b32_e32 v19, 0
	v_mov_b64_e32 v[16:17], 0
	v_mov_b64_e32 v[4:5], 0
	v_mov_b32_e32 v11, v19
	v_mov_b32_e32 v7, v19
	;; [unrolled: 1-line block ×3, first 2 shown]
	v_mov_b64_e32 v[14:15], v[18:19]
	v_mov_b64_e32 v[12:13], v[16:17]
	;; [unrolled: 1-line block ×3, first 2 shown]
.LBB117_4:
	s_load_dwordx2 s[0:1], s[0:1], 0x0
	v_lshl_or_b32 v0, s2, 10, v18
	v_mov_b32_e32 v1, 0
	s_waitcnt lgkmcnt(0)
	v_lshl_add_u64 v[0:1], v[0:1], 4, s[0:1]
	global_store_dwordx4 v[0:1], v[14:17], off
	global_store_dwordx4 v[0:1], v[10:13], off offset:16
	global_store_dwordx4 v[0:1], v[6:9], off offset:32
	;; [unrolled: 1-line block ×3, first 2 shown]
	s_endpgm
	.section	.rodata,"a",@progbits
	.p2align	6, 0x0
	.amdhsa_kernel _Z20warp_exchange_kernelILj256ELj4ELj64EN6common18StripedToBlockedOpEnEvPT3_j
		.amdhsa_group_segment_fixed_size 16384
		.amdhsa_private_segment_fixed_size 0
		.amdhsa_kernarg_size 12
		.amdhsa_user_sgpr_count 2
		.amdhsa_user_sgpr_dispatch_ptr 0
		.amdhsa_user_sgpr_queue_ptr 0
		.amdhsa_user_sgpr_kernarg_segment_ptr 1
		.amdhsa_user_sgpr_dispatch_id 0
		.amdhsa_user_sgpr_kernarg_preload_length 0
		.amdhsa_user_sgpr_kernarg_preload_offset 0
		.amdhsa_user_sgpr_private_segment_size 0
		.amdhsa_uses_dynamic_stack 0
		.amdhsa_enable_private_segment 0
		.amdhsa_system_sgpr_workgroup_id_x 1
		.amdhsa_system_sgpr_workgroup_id_y 0
		.amdhsa_system_sgpr_workgroup_id_z 0
		.amdhsa_system_sgpr_workgroup_info 0
		.amdhsa_system_vgpr_workitem_id 0
		.amdhsa_next_free_vgpr 20
		.amdhsa_next_free_sgpr 4
		.amdhsa_accum_offset 20
		.amdhsa_reserve_vcc 0
		.amdhsa_float_round_mode_32 0
		.amdhsa_float_round_mode_16_64 0
		.amdhsa_float_denorm_mode_32 3
		.amdhsa_float_denorm_mode_16_64 3
		.amdhsa_dx10_clamp 1
		.amdhsa_ieee_mode 1
		.amdhsa_fp16_overflow 0
		.amdhsa_tg_split 0
		.amdhsa_exception_fp_ieee_invalid_op 0
		.amdhsa_exception_fp_denorm_src 0
		.amdhsa_exception_fp_ieee_div_zero 0
		.amdhsa_exception_fp_ieee_overflow 0
		.amdhsa_exception_fp_ieee_underflow 0
		.amdhsa_exception_fp_ieee_inexact 0
		.amdhsa_exception_int_div_zero 0
	.end_amdhsa_kernel
	.section	.text._Z20warp_exchange_kernelILj256ELj4ELj64EN6common18StripedToBlockedOpEnEvPT3_j,"axG",@progbits,_Z20warp_exchange_kernelILj256ELj4ELj64EN6common18StripedToBlockedOpEnEvPT3_j,comdat
.Lfunc_end117:
	.size	_Z20warp_exchange_kernelILj256ELj4ELj64EN6common18StripedToBlockedOpEnEvPT3_j, .Lfunc_end117-_Z20warp_exchange_kernelILj256ELj4ELj64EN6common18StripedToBlockedOpEnEvPT3_j
                                        ; -- End function
	.section	.AMDGPU.csdata,"",@progbits
; Kernel info:
; codeLenInByte = 316
; NumSgprs: 10
; NumVgprs: 20
; NumAgprs: 0
; TotalNumVgprs: 20
; ScratchSize: 0
; MemoryBound: 0
; FloatMode: 240
; IeeeMode: 1
; LDSByteSize: 16384 bytes/workgroup (compile time only)
; SGPRBlocks: 1
; VGPRBlocks: 2
; NumSGPRsForWavesPerEU: 10
; NumVGPRsForWavesPerEU: 20
; AccumOffset: 20
; Occupancy: 4
; WaveLimiterHint : 0
; COMPUTE_PGM_RSRC2:SCRATCH_EN: 0
; COMPUTE_PGM_RSRC2:USER_SGPR: 2
; COMPUTE_PGM_RSRC2:TRAP_HANDLER: 0
; COMPUTE_PGM_RSRC2:TGID_X_EN: 1
; COMPUTE_PGM_RSRC2:TGID_Y_EN: 0
; COMPUTE_PGM_RSRC2:TGID_Z_EN: 0
; COMPUTE_PGM_RSRC2:TIDIG_COMP_CNT: 0
; COMPUTE_PGM_RSRC3_GFX90A:ACCUM_OFFSET: 4
; COMPUTE_PGM_RSRC3_GFX90A:TG_SPLIT: 0
	.section	.text._Z20warp_exchange_kernelILj256ELj16ELj64EN6common18StripedToBlockedOpEnEvPT3_j,"axG",@progbits,_Z20warp_exchange_kernelILj256ELj16ELj64EN6common18StripedToBlockedOpEnEvPT3_j,comdat
	.protected	_Z20warp_exchange_kernelILj256ELj16ELj64EN6common18StripedToBlockedOpEnEvPT3_j ; -- Begin function _Z20warp_exchange_kernelILj256ELj16ELj64EN6common18StripedToBlockedOpEnEvPT3_j
	.globl	_Z20warp_exchange_kernelILj256ELj16ELj64EN6common18StripedToBlockedOpEnEvPT3_j
	.p2align	8
	.type	_Z20warp_exchange_kernelILj256ELj16ELj64EN6common18StripedToBlockedOpEnEvPT3_j,@function
_Z20warp_exchange_kernelILj256ELj16ELj64EN6common18StripedToBlockedOpEnEvPT3_j: ; @_Z20warp_exchange_kernelILj256ELj16ELj64EN6common18StripedToBlockedOpEnEvPT3_j
; %bb.0:
	s_load_dword s3, s[0:1], 0x8
	v_lshlrev_b32_e32 v66, 4, v0
	v_or_b32_e32 v58, 1, v66
	v_or_b32_e32 v46, 2, v66
	;; [unrolled: 1-line block ×14, first 2 shown]
	s_waitcnt lgkmcnt(0)
	s_cmp_eq_u32 s3, 0
	v_or_b32_e32 v2, 15, v66
	s_cbranch_scc1 .LBB118_3
; %bb.1:
	v_lshlrev_b32_e32 v0, 8, v0
	v_mov_b32_e32 v3, 0
	v_and_b32_e32 v1, 0xc000, v0
	v_mbcnt_lo_u32_b32 v0, -1, 0
	v_mov_b64_e32 v[4:5], 0
	v_mov_b32_e32 v67, v3
	v_mbcnt_hi_u32_b32 v8, -1, v0
	v_mov_b64_e32 v[64:65], 0
	v_mov_b32_e32 v7, v3
	v_mov_b32_e32 v11, v3
	;; [unrolled: 1-line block ×14, first 2 shown]
	v_lshl_or_b32 v0, v8, 4, v1
	v_lshl_add_u32 v1, v8, 8, v1
	v_mov_b64_e32 v[8:9], v[4:5]
	v_mov_b64_e32 v[12:13], v[4:5]
	;; [unrolled: 1-line block ×15, first 2 shown]
.LBB118_2:                              ; =>This Inner Loop Header: Depth=1
	s_waitcnt lgkmcnt(14)
	ds_write_b128 v0, v[62:65]
	ds_write_b128 v0, v[58:61] offset:1024
	s_waitcnt lgkmcnt(14)
	ds_write_b128 v0, v[46:49] offset:2048
	ds_write_b128 v0, v[34:37] offset:3072
	s_waitcnt lgkmcnt(14)
	ds_write_b128 v0, v[54:57] offset:4096
	;; [unrolled: 3-line block ×7, first 2 shown]
	ds_write_b128 v0, v[2:5] offset:15360
	; wave barrier
	ds_read_b128 v[62:65], v1
	ds_read_b128 v[58:61], v1 offset:16
	ds_read_b128 v[46:49], v1 offset:32
	;; [unrolled: 1-line block ×15, first 2 shown]
	s_add_i32 s3, s3, -1
	s_cmp_lg_u32 s3, 0
	; wave barrier
	s_cbranch_scc1 .LBB118_2
	s_branch .LBB118_4
.LBB118_3:
	v_mov_b32_e32 v67, 0
	v_mov_b64_e32 v[64:65], 0
	v_mov_b64_e32 v[4:5], 0
	v_mov_b32_e32 v59, v67
	v_mov_b32_e32 v47, v67
	;; [unrolled: 1-line block ×15, first 2 shown]
	v_mov_b64_e32 v[62:63], v[66:67]
	v_mov_b64_e32 v[60:61], v[64:65]
	;; [unrolled: 1-line block ×15, first 2 shown]
.LBB118_4:
	s_load_dwordx2 s[0:1], s[0:1], 0x0
	v_lshl_or_b32 v0, s2, 12, v66
	v_mov_b32_e32 v1, 0
	s_waitcnt lgkmcnt(0)
	v_lshl_add_u64 v[0:1], v[0:1], 4, s[0:1]
	global_store_dwordx4 v[0:1], v[62:65], off
	global_store_dwordx4 v[0:1], v[58:61], off offset:16
	global_store_dwordx4 v[0:1], v[46:49], off offset:32
	global_store_dwordx4 v[0:1], v[34:37], off offset:48
	global_store_dwordx4 v[0:1], v[54:57], off offset:64
	global_store_dwordx4 v[0:1], v[50:53], off offset:80
	global_store_dwordx4 v[0:1], v[42:45], off offset:96
	global_store_dwordx4 v[0:1], v[38:41], off offset:112
	global_store_dwordx4 v[0:1], v[30:33], off offset:128
	global_store_dwordx4 v[0:1], v[26:29], off offset:144
	global_store_dwordx4 v[0:1], v[22:25], off offset:160
	global_store_dwordx4 v[0:1], v[18:21], off offset:176
	global_store_dwordx4 v[0:1], v[14:17], off offset:192
	global_store_dwordx4 v[0:1], v[10:13], off offset:208
	global_store_dwordx4 v[0:1], v[6:9], off offset:224
	global_store_dwordx4 v[0:1], v[2:5], off offset:240
	s_endpgm
	.section	.rodata,"a",@progbits
	.p2align	6, 0x0
	.amdhsa_kernel _Z20warp_exchange_kernelILj256ELj16ELj64EN6common18StripedToBlockedOpEnEvPT3_j
		.amdhsa_group_segment_fixed_size 65536
		.amdhsa_private_segment_fixed_size 0
		.amdhsa_kernarg_size 12
		.amdhsa_user_sgpr_count 2
		.amdhsa_user_sgpr_dispatch_ptr 0
		.amdhsa_user_sgpr_queue_ptr 0
		.amdhsa_user_sgpr_kernarg_segment_ptr 1
		.amdhsa_user_sgpr_dispatch_id 0
		.amdhsa_user_sgpr_kernarg_preload_length 0
		.amdhsa_user_sgpr_kernarg_preload_offset 0
		.amdhsa_user_sgpr_private_segment_size 0
		.amdhsa_uses_dynamic_stack 0
		.amdhsa_enable_private_segment 0
		.amdhsa_system_sgpr_workgroup_id_x 1
		.amdhsa_system_sgpr_workgroup_id_y 0
		.amdhsa_system_sgpr_workgroup_id_z 0
		.amdhsa_system_sgpr_workgroup_info 0
		.amdhsa_system_vgpr_workitem_id 0
		.amdhsa_next_free_vgpr 68
		.amdhsa_next_free_sgpr 4
		.amdhsa_accum_offset 68
		.amdhsa_reserve_vcc 0
		.amdhsa_float_round_mode_32 0
		.amdhsa_float_round_mode_16_64 0
		.amdhsa_float_denorm_mode_32 3
		.amdhsa_float_denorm_mode_16_64 3
		.amdhsa_dx10_clamp 1
		.amdhsa_ieee_mode 1
		.amdhsa_fp16_overflow 0
		.amdhsa_tg_split 0
		.amdhsa_exception_fp_ieee_invalid_op 0
		.amdhsa_exception_fp_denorm_src 0
		.amdhsa_exception_fp_ieee_div_zero 0
		.amdhsa_exception_fp_ieee_overflow 0
		.amdhsa_exception_fp_ieee_underflow 0
		.amdhsa_exception_fp_ieee_inexact 0
		.amdhsa_exception_int_div_zero 0
	.end_amdhsa_kernel
	.section	.text._Z20warp_exchange_kernelILj256ELj16ELj64EN6common18StripedToBlockedOpEnEvPT3_j,"axG",@progbits,_Z20warp_exchange_kernelILj256ELj16ELj64EN6common18StripedToBlockedOpEnEvPT3_j,comdat
.Lfunc_end118:
	.size	_Z20warp_exchange_kernelILj256ELj16ELj64EN6common18StripedToBlockedOpEnEvPT3_j, .Lfunc_end118-_Z20warp_exchange_kernelILj256ELj16ELj64EN6common18StripedToBlockedOpEnEvPT3_j
                                        ; -- End function
	.section	.AMDGPU.csdata,"",@progbits
; Kernel info:
; codeLenInByte = 860
; NumSgprs: 10
; NumVgprs: 68
; NumAgprs: 0
; TotalNumVgprs: 68
; ScratchSize: 0
; MemoryBound: 1
; FloatMode: 240
; IeeeMode: 1
; LDSByteSize: 65536 bytes/workgroup (compile time only)
; SGPRBlocks: 1
; VGPRBlocks: 8
; NumSGPRsForWavesPerEU: 10
; NumVGPRsForWavesPerEU: 68
; AccumOffset: 68
; Occupancy: 1
; WaveLimiterHint : 1
; COMPUTE_PGM_RSRC2:SCRATCH_EN: 0
; COMPUTE_PGM_RSRC2:USER_SGPR: 2
; COMPUTE_PGM_RSRC2:TRAP_HANDLER: 0
; COMPUTE_PGM_RSRC2:TGID_X_EN: 1
; COMPUTE_PGM_RSRC2:TGID_Y_EN: 0
; COMPUTE_PGM_RSRC2:TGID_Z_EN: 0
; COMPUTE_PGM_RSRC2:TIDIG_COMP_CNT: 0
; COMPUTE_PGM_RSRC3_GFX90A:ACCUM_OFFSET: 16
; COMPUTE_PGM_RSRC3_GFX90A:TG_SPLIT: 0
	.section	.text._Z20warp_exchange_kernelILj256ELj1ELj64EN6common25BlockedToStripedShuffleOpEnEvPT3_j,"axG",@progbits,_Z20warp_exchange_kernelILj256ELj1ELj64EN6common25BlockedToStripedShuffleOpEnEvPT3_j,comdat
	.protected	_Z20warp_exchange_kernelILj256ELj1ELj64EN6common25BlockedToStripedShuffleOpEnEvPT3_j ; -- Begin function _Z20warp_exchange_kernelILj256ELj1ELj64EN6common25BlockedToStripedShuffleOpEnEvPT3_j
	.globl	_Z20warp_exchange_kernelILj256ELj1ELj64EN6common25BlockedToStripedShuffleOpEnEvPT3_j
	.p2align	8
	.type	_Z20warp_exchange_kernelILj256ELj1ELj64EN6common25BlockedToStripedShuffleOpEnEvPT3_j,@function
_Z20warp_exchange_kernelILj256ELj1ELj64EN6common25BlockedToStripedShuffleOpEnEvPT3_j: ; @_Z20warp_exchange_kernelILj256ELj1ELj64EN6common25BlockedToStripedShuffleOpEnEvPT3_j
; %bb.0:
	s_load_dword s3, s[0:1], 0x8
	v_mov_b32_e32 v5, 0
	s_waitcnt lgkmcnt(0)
	s_cmp_eq_u32 s3, 0
	s_cbranch_scc1 .LBB119_3
; %bb.1:
	v_mbcnt_lo_u32_b32 v1, -1, 0
	v_mbcnt_hi_u32_b32 v1, -1, v1
	v_lshlrev_b32_e32 v1, 2, v1
	v_mov_b32_e32 v2, v0
	v_mov_b32_e32 v3, 0
	;; [unrolled: 1-line block ×3, first 2 shown]
.LBB119_2:                              ; =>This Inner Loop Header: Depth=1
	s_waitcnt lgkmcnt(3)
	ds_bpermute_b32 v2, v1, v2
	s_waitcnt lgkmcnt(3)
	ds_bpermute_b32 v3, v1, v3
	;; [unrolled: 2-line block ×4, first 2 shown]
	s_add_i32 s3, s3, -1
	s_cmp_lg_u32 s3, 0
	; wave barrier
	s_cbranch_scc1 .LBB119_2
	s_branch .LBB119_4
.LBB119_3:
	v_mov_b32_e32 v2, v0
	v_mov_b32_e32 v3, 0
	;; [unrolled: 1-line block ×3, first 2 shown]
.LBB119_4:
	s_load_dwordx2 s[0:1], s[0:1], 0x0
	v_lshl_or_b32 v0, s2, 8, v0
	v_mov_b32_e32 v1, 0
	s_waitcnt lgkmcnt(0)
	v_lshl_add_u64 v[0:1], v[0:1], 4, s[0:1]
	global_store_dwordx4 v[0:1], v[2:5], off
	s_endpgm
	.section	.rodata,"a",@progbits
	.p2align	6, 0x0
	.amdhsa_kernel _Z20warp_exchange_kernelILj256ELj1ELj64EN6common25BlockedToStripedShuffleOpEnEvPT3_j
		.amdhsa_group_segment_fixed_size 0
		.amdhsa_private_segment_fixed_size 0
		.amdhsa_kernarg_size 12
		.amdhsa_user_sgpr_count 2
		.amdhsa_user_sgpr_dispatch_ptr 0
		.amdhsa_user_sgpr_queue_ptr 0
		.amdhsa_user_sgpr_kernarg_segment_ptr 1
		.amdhsa_user_sgpr_dispatch_id 0
		.amdhsa_user_sgpr_kernarg_preload_length 0
		.amdhsa_user_sgpr_kernarg_preload_offset 0
		.amdhsa_user_sgpr_private_segment_size 0
		.amdhsa_uses_dynamic_stack 0
		.amdhsa_enable_private_segment 0
		.amdhsa_system_sgpr_workgroup_id_x 1
		.amdhsa_system_sgpr_workgroup_id_y 0
		.amdhsa_system_sgpr_workgroup_id_z 0
		.amdhsa_system_sgpr_workgroup_info 0
		.amdhsa_system_vgpr_workitem_id 0
		.amdhsa_next_free_vgpr 6
		.amdhsa_next_free_sgpr 4
		.amdhsa_accum_offset 8
		.amdhsa_reserve_vcc 0
		.amdhsa_float_round_mode_32 0
		.amdhsa_float_round_mode_16_64 0
		.amdhsa_float_denorm_mode_32 3
		.amdhsa_float_denorm_mode_16_64 3
		.amdhsa_dx10_clamp 1
		.amdhsa_ieee_mode 1
		.amdhsa_fp16_overflow 0
		.amdhsa_tg_split 0
		.amdhsa_exception_fp_ieee_invalid_op 0
		.amdhsa_exception_fp_denorm_src 0
		.amdhsa_exception_fp_ieee_div_zero 0
		.amdhsa_exception_fp_ieee_overflow 0
		.amdhsa_exception_fp_ieee_underflow 0
		.amdhsa_exception_fp_ieee_inexact 0
		.amdhsa_exception_int_div_zero 0
	.end_amdhsa_kernel
	.section	.text._Z20warp_exchange_kernelILj256ELj1ELj64EN6common25BlockedToStripedShuffleOpEnEvPT3_j,"axG",@progbits,_Z20warp_exchange_kernelILj256ELj1ELj64EN6common25BlockedToStripedShuffleOpEnEvPT3_j,comdat
.Lfunc_end119:
	.size	_Z20warp_exchange_kernelILj256ELj1ELj64EN6common25BlockedToStripedShuffleOpEnEvPT3_j, .Lfunc_end119-_Z20warp_exchange_kernelILj256ELj1ELj64EN6common25BlockedToStripedShuffleOpEnEvPT3_j
                                        ; -- End function
	.section	.AMDGPU.csdata,"",@progbits
; Kernel info:
; codeLenInByte = 176
; NumSgprs: 10
; NumVgprs: 6
; NumAgprs: 0
; TotalNumVgprs: 6
; ScratchSize: 0
; MemoryBound: 0
; FloatMode: 240
; IeeeMode: 1
; LDSByteSize: 0 bytes/workgroup (compile time only)
; SGPRBlocks: 1
; VGPRBlocks: 0
; NumSGPRsForWavesPerEU: 10
; NumVGPRsForWavesPerEU: 6
; AccumOffset: 8
; Occupancy: 8
; WaveLimiterHint : 0
; COMPUTE_PGM_RSRC2:SCRATCH_EN: 0
; COMPUTE_PGM_RSRC2:USER_SGPR: 2
; COMPUTE_PGM_RSRC2:TRAP_HANDLER: 0
; COMPUTE_PGM_RSRC2:TGID_X_EN: 1
; COMPUTE_PGM_RSRC2:TGID_Y_EN: 0
; COMPUTE_PGM_RSRC2:TGID_Z_EN: 0
; COMPUTE_PGM_RSRC2:TIDIG_COMP_CNT: 0
; COMPUTE_PGM_RSRC3_GFX90A:ACCUM_OFFSET: 1
; COMPUTE_PGM_RSRC3_GFX90A:TG_SPLIT: 0
	.section	.text._Z20warp_exchange_kernelILj256ELj4ELj64EN6common25BlockedToStripedShuffleOpEnEvPT3_j,"axG",@progbits,_Z20warp_exchange_kernelILj256ELj4ELj64EN6common25BlockedToStripedShuffleOpEnEvPT3_j,comdat
	.protected	_Z20warp_exchange_kernelILj256ELj4ELj64EN6common25BlockedToStripedShuffleOpEnEvPT3_j ; -- Begin function _Z20warp_exchange_kernelILj256ELj4ELj64EN6common25BlockedToStripedShuffleOpEnEvPT3_j
	.globl	_Z20warp_exchange_kernelILj256ELj4ELj64EN6common25BlockedToStripedShuffleOpEnEvPT3_j
	.p2align	8
	.type	_Z20warp_exchange_kernelILj256ELj4ELj64EN6common25BlockedToStripedShuffleOpEnEvPT3_j,@function
_Z20warp_exchange_kernelILj256ELj4ELj64EN6common25BlockedToStripedShuffleOpEnEvPT3_j: ; @_Z20warp_exchange_kernelILj256ELj4ELj64EN6common25BlockedToStripedShuffleOpEnEvPT3_j
; %bb.0:
	s_load_dword s3, s[0:1], 0x8
	v_lshlrev_b32_e32 v16, 2, v0
	v_mov_b32_e32 v17, 0
	v_or_b32_e32 v22, 1, v16
	v_or_b32_e32 v20, 2, v16
	s_waitcnt lgkmcnt(0)
	s_cmp_eq_u32 s3, 0
	v_or_b32_e32 v18, 3, v16
	s_cbranch_scc1 .LBB120_27
; %bb.1:
	v_mbcnt_lo_u32_b32 v0, -1, 0
	v_mbcnt_hi_u32_b32 v0, -1, v0
	v_lshrrev_b32_e32 v1, 2, v0
	v_and_b32_e32 v2, 64, v0
	v_and_b32_e32 v0, 3, v0
	v_or_b32_e32 v3, v1, v2
	v_cmp_eq_u32_e32 vcc, 0, v0
	v_cmp_eq_u32_e64 s[8:9], 1, v0
	v_cmp_eq_u32_e64 s[4:5], 2, v0
	v_cmp_eq_u32_e64 s[6:7], 3, v0
	v_add_u32_e32 v0, 48, v1
	v_lshlrev_b32_e32 v26, 2, v3
	v_and_or_b32 v0, v0, 63, v2
	v_add_u32_e32 v27, 64, v26
	v_or_b32_e32 v28, 0x80, v26
	v_lshlrev_b32_e32 v29, 2, v0
	v_mov_b32_e32 v30, 0
	v_mov_b32_e32 v31, 0
	;; [unrolled: 1-line block ×12, first 2 shown]
	s_branch .LBB120_3
.LBB120_2:                              ;   in Loop: Header=BB120_3 Depth=1
	s_or_b64 exec, exec, s[10:11]
	s_add_i32 s3, s3, -1
	s_cmp_lg_u32 s3, 0
	s_waitcnt lgkmcnt(3)
	v_mov_b32_e32 v18, v12
	v_mov_b32_e32 v17, v13
	;; [unrolled: 1-line block ×4, first 2 shown]
	s_waitcnt lgkmcnt(1)
	v_mov_b32_e32 v20, v8
	v_mov_b32_e32 v19, v9
	;; [unrolled: 1-line block ×5, first 2 shown]
	s_waitcnt lgkmcnt(0)
	v_mov_b32_e32 v21, v5
	v_mov_b32_e32 v24, v6
	;; [unrolled: 1-line block ×7, first 2 shown]
	; wave barrier
	s_cbranch_scc0 .LBB120_28
.LBB120_3:                              ; =>This Inner Loop Header: Depth=1
	ds_bpermute_b32 v0, v26, v23
	ds_bpermute_b32 v1, v26, v34
	;; [unrolled: 1-line block ×4, first 2 shown]
	s_and_saveexec_b64 s[10:11], vcc
	s_or_b64 exec, exec, s[10:11]
	ds_bpermute_b32 v4, v26, v22
	ds_bpermute_b32 v5, v26, v21
	;; [unrolled: 1-line block ×4, first 2 shown]
	s_and_saveexec_b64 s[10:11], s[8:9]
	s_cbranch_execz .LBB120_5
; %bb.4:                                ;   in Loop: Header=BB120_3 Depth=1
	s_waitcnt lgkmcnt(2)
	v_mov_b64_e32 v[0:1], v[4:5]
	s_waitcnt lgkmcnt(0)
	v_mov_b64_e32 v[2:3], v[6:7]
.LBB120_5:                              ;   in Loop: Header=BB120_3 Depth=1
	s_or_b64 exec, exec, s[10:11]
	s_waitcnt lgkmcnt(3)
	ds_bpermute_b32 v4, v26, v20
	s_waitcnt lgkmcnt(3)
	ds_bpermute_b32 v5, v26, v19
	s_waitcnt lgkmcnt(3)
	ds_bpermute_b32 v6, v26, v32
	s_waitcnt lgkmcnt(3)
	ds_bpermute_b32 v7, v26, v33
	s_and_saveexec_b64 s[10:11], s[4:5]
	s_cbranch_execz .LBB120_7
; %bb.6:                                ;   in Loop: Header=BB120_3 Depth=1
	s_waitcnt lgkmcnt(2)
	v_mov_b64_e32 v[0:1], v[4:5]
	s_waitcnt lgkmcnt(0)
	v_mov_b64_e32 v[2:3], v[6:7]
.LBB120_7:                              ;   in Loop: Header=BB120_3 Depth=1
	s_or_b64 exec, exec, s[10:11]
	s_waitcnt lgkmcnt(3)
	ds_bpermute_b32 v4, v26, v18
	s_waitcnt lgkmcnt(3)
	ds_bpermute_b32 v5, v26, v17
	s_waitcnt lgkmcnt(3)
	ds_bpermute_b32 v6, v26, v30
	s_waitcnt lgkmcnt(3)
	ds_bpermute_b32 v7, v26, v31
	;; [unrolled: 17-line block ×3, first 2 shown]
	s_and_saveexec_b64 s[10:11], vcc
	s_or_b64 exec, exec, s[10:11]
	ds_bpermute_b32 v8, v27, v22
	ds_bpermute_b32 v9, v27, v21
	;; [unrolled: 1-line block ×4, first 2 shown]
	s_and_saveexec_b64 s[10:11], s[8:9]
	s_cbranch_execz .LBB120_11
; %bb.10:                               ;   in Loop: Header=BB120_3 Depth=1
	s_waitcnt lgkmcnt(2)
	v_mov_b64_e32 v[4:5], v[8:9]
	s_waitcnt lgkmcnt(0)
	v_mov_b64_e32 v[6:7], v[10:11]
.LBB120_11:                             ;   in Loop: Header=BB120_3 Depth=1
	s_or_b64 exec, exec, s[10:11]
	s_waitcnt lgkmcnt(3)
	ds_bpermute_b32 v8, v27, v20
	s_waitcnt lgkmcnt(3)
	ds_bpermute_b32 v9, v27, v19
	s_waitcnt lgkmcnt(3)
	ds_bpermute_b32 v10, v27, v32
	s_waitcnt lgkmcnt(3)
	ds_bpermute_b32 v11, v27, v33
	s_and_saveexec_b64 s[10:11], s[4:5]
	s_cbranch_execz .LBB120_13
; %bb.12:                               ;   in Loop: Header=BB120_3 Depth=1
	s_waitcnt lgkmcnt(2)
	v_mov_b64_e32 v[4:5], v[8:9]
	s_waitcnt lgkmcnt(0)
	v_mov_b64_e32 v[6:7], v[10:11]
.LBB120_13:                             ;   in Loop: Header=BB120_3 Depth=1
	s_or_b64 exec, exec, s[10:11]
	s_waitcnt lgkmcnt(3)
	ds_bpermute_b32 v8, v27, v18
	s_waitcnt lgkmcnt(3)
	ds_bpermute_b32 v9, v27, v17
	s_waitcnt lgkmcnt(3)
	ds_bpermute_b32 v10, v27, v30
	s_waitcnt lgkmcnt(3)
	ds_bpermute_b32 v11, v27, v31
	;; [unrolled: 17-line block ×3, first 2 shown]
	s_and_saveexec_b64 s[10:11], vcc
	s_or_b64 exec, exec, s[10:11]
	ds_bpermute_b32 v12, v28, v22
	ds_bpermute_b32 v13, v28, v21
	;; [unrolled: 1-line block ×4, first 2 shown]
	s_and_saveexec_b64 s[10:11], s[8:9]
	s_cbranch_execz .LBB120_17
; %bb.16:                               ;   in Loop: Header=BB120_3 Depth=1
	s_waitcnt lgkmcnt(2)
	v_mov_b64_e32 v[8:9], v[12:13]
	s_waitcnt lgkmcnt(0)
	v_mov_b64_e32 v[10:11], v[14:15]
.LBB120_17:                             ;   in Loop: Header=BB120_3 Depth=1
	s_or_b64 exec, exec, s[10:11]
	s_waitcnt lgkmcnt(3)
	ds_bpermute_b32 v12, v28, v20
	s_waitcnt lgkmcnt(3)
	ds_bpermute_b32 v13, v28, v19
	s_waitcnt lgkmcnt(3)
	ds_bpermute_b32 v14, v28, v32
	s_waitcnt lgkmcnt(3)
	ds_bpermute_b32 v15, v28, v33
	s_and_saveexec_b64 s[10:11], s[4:5]
	s_cbranch_execz .LBB120_19
; %bb.18:                               ;   in Loop: Header=BB120_3 Depth=1
	s_waitcnt lgkmcnt(2)
	v_mov_b64_e32 v[8:9], v[12:13]
	s_waitcnt lgkmcnt(0)
	v_mov_b64_e32 v[10:11], v[14:15]
.LBB120_19:                             ;   in Loop: Header=BB120_3 Depth=1
	s_or_b64 exec, exec, s[10:11]
	s_waitcnt lgkmcnt(3)
	ds_bpermute_b32 v12, v28, v18
	s_waitcnt lgkmcnt(3)
	ds_bpermute_b32 v13, v28, v17
	s_waitcnt lgkmcnt(3)
	ds_bpermute_b32 v14, v28, v30
	s_waitcnt lgkmcnt(3)
	ds_bpermute_b32 v15, v28, v31
	;; [unrolled: 17-line block ×3, first 2 shown]
	s_and_saveexec_b64 s[10:11], vcc
	s_or_b64 exec, exec, s[10:11]
	ds_bpermute_b32 v22, v29, v22
	ds_bpermute_b32 v23, v29, v21
	;; [unrolled: 1-line block ×4, first 2 shown]
	s_and_saveexec_b64 s[10:11], s[8:9]
	s_cbranch_execz .LBB120_23
; %bb.22:                               ;   in Loop: Header=BB120_3 Depth=1
	s_waitcnt lgkmcnt(2)
	v_mov_b64_e32 v[12:13], v[22:23]
	s_waitcnt lgkmcnt(0)
	v_mov_b64_e32 v[14:15], v[24:25]
.LBB120_23:                             ;   in Loop: Header=BB120_3 Depth=1
	s_or_b64 exec, exec, s[10:11]
	ds_bpermute_b32 v20, v29, v20
	ds_bpermute_b32 v21, v29, v19
	s_waitcnt lgkmcnt(5)
	ds_bpermute_b32 v22, v29, v32
	s_waitcnt lgkmcnt(5)
	ds_bpermute_b32 v23, v29, v33
	s_and_saveexec_b64 s[10:11], s[4:5]
	s_cbranch_execz .LBB120_25
; %bb.24:                               ;   in Loop: Header=BB120_3 Depth=1
	s_waitcnt lgkmcnt(2)
	v_mov_b64_e32 v[12:13], v[20:21]
	s_waitcnt lgkmcnt(0)
	v_mov_b64_e32 v[14:15], v[22:23]
.LBB120_25:                             ;   in Loop: Header=BB120_3 Depth=1
	s_or_b64 exec, exec, s[10:11]
	ds_bpermute_b32 v18, v29, v18
	ds_bpermute_b32 v19, v29, v17
	s_waitcnt lgkmcnt(5)
	ds_bpermute_b32 v20, v29, v30
	s_waitcnt lgkmcnt(5)
	ds_bpermute_b32 v21, v29, v31
	s_and_saveexec_b64 s[10:11], s[6:7]
	s_cbranch_execz .LBB120_2
; %bb.26:                               ;   in Loop: Header=BB120_3 Depth=1
	s_waitcnt lgkmcnt(2)
	v_mov_b64_e32 v[12:13], v[18:19]
	s_waitcnt lgkmcnt(0)
	v_mov_b64_e32 v[14:15], v[20:21]
	s_branch .LBB120_2
.LBB120_27:
	v_mov_b64_e32 v[2:3], 0
	v_mov_b32_e32 v23, v17
	v_mov_b32_e32 v21, v17
	;; [unrolled: 1-line block ×3, first 2 shown]
	v_mov_b64_e32 v[14:15], 0
	v_mov_b64_e32 v[0:1], v[16:17]
	;; [unrolled: 1-line block ×7, first 2 shown]
.LBB120_28:
	s_load_dwordx2 s[0:1], s[0:1], 0x0
	v_lshl_or_b32 v16, s2, 10, v16
	v_mov_b32_e32 v17, 0
	s_waitcnt lgkmcnt(0)
	v_lshl_add_u64 v[16:17], v[16:17], 4, s[0:1]
	global_store_dwordx4 v[16:17], v[0:3], off
	global_store_dwordx4 v[16:17], v[4:7], off offset:16
	global_store_dwordx4 v[16:17], v[8:11], off offset:32
	;; [unrolled: 1-line block ×3, first 2 shown]
	s_endpgm
	.section	.rodata,"a",@progbits
	.p2align	6, 0x0
	.amdhsa_kernel _Z20warp_exchange_kernelILj256ELj4ELj64EN6common25BlockedToStripedShuffleOpEnEvPT3_j
		.amdhsa_group_segment_fixed_size 0
		.amdhsa_private_segment_fixed_size 0
		.amdhsa_kernarg_size 12
		.amdhsa_user_sgpr_count 2
		.amdhsa_user_sgpr_dispatch_ptr 0
		.amdhsa_user_sgpr_queue_ptr 0
		.amdhsa_user_sgpr_kernarg_segment_ptr 1
		.amdhsa_user_sgpr_dispatch_id 0
		.amdhsa_user_sgpr_kernarg_preload_length 0
		.amdhsa_user_sgpr_kernarg_preload_offset 0
		.amdhsa_user_sgpr_private_segment_size 0
		.amdhsa_uses_dynamic_stack 0
		.amdhsa_enable_private_segment 0
		.amdhsa_system_sgpr_workgroup_id_x 1
		.amdhsa_system_sgpr_workgroup_id_y 0
		.amdhsa_system_sgpr_workgroup_id_z 0
		.amdhsa_system_sgpr_workgroup_info 0
		.amdhsa_system_vgpr_workitem_id 0
		.amdhsa_next_free_vgpr 37
		.amdhsa_next_free_sgpr 12
		.amdhsa_accum_offset 40
		.amdhsa_reserve_vcc 1
		.amdhsa_float_round_mode_32 0
		.amdhsa_float_round_mode_16_64 0
		.amdhsa_float_denorm_mode_32 3
		.amdhsa_float_denorm_mode_16_64 3
		.amdhsa_dx10_clamp 1
		.amdhsa_ieee_mode 1
		.amdhsa_fp16_overflow 0
		.amdhsa_tg_split 0
		.amdhsa_exception_fp_ieee_invalid_op 0
		.amdhsa_exception_fp_denorm_src 0
		.amdhsa_exception_fp_ieee_div_zero 0
		.amdhsa_exception_fp_ieee_overflow 0
		.amdhsa_exception_fp_ieee_underflow 0
		.amdhsa_exception_fp_ieee_inexact 0
		.amdhsa_exception_int_div_zero 0
	.end_amdhsa_kernel
	.section	.text._Z20warp_exchange_kernelILj256ELj4ELj64EN6common25BlockedToStripedShuffleOpEnEvPT3_j,"axG",@progbits,_Z20warp_exchange_kernelILj256ELj4ELj64EN6common25BlockedToStripedShuffleOpEnEvPT3_j,comdat
.Lfunc_end120:
	.size	_Z20warp_exchange_kernelILj256ELj4ELj64EN6common25BlockedToStripedShuffleOpEnEvPT3_j, .Lfunc_end120-_Z20warp_exchange_kernelILj256ELj4ELj64EN6common25BlockedToStripedShuffleOpEnEvPT3_j
                                        ; -- End function
	.section	.AMDGPU.csdata,"",@progbits
; Kernel info:
; codeLenInByte = 1428
; NumSgprs: 18
; NumVgprs: 37
; NumAgprs: 0
; TotalNumVgprs: 37
; ScratchSize: 0
; MemoryBound: 0
; FloatMode: 240
; IeeeMode: 1
; LDSByteSize: 0 bytes/workgroup (compile time only)
; SGPRBlocks: 2
; VGPRBlocks: 4
; NumSGPRsForWavesPerEU: 18
; NumVGPRsForWavesPerEU: 37
; AccumOffset: 40
; Occupancy: 8
; WaveLimiterHint : 0
; COMPUTE_PGM_RSRC2:SCRATCH_EN: 0
; COMPUTE_PGM_RSRC2:USER_SGPR: 2
; COMPUTE_PGM_RSRC2:TRAP_HANDLER: 0
; COMPUTE_PGM_RSRC2:TGID_X_EN: 1
; COMPUTE_PGM_RSRC2:TGID_Y_EN: 0
; COMPUTE_PGM_RSRC2:TGID_Z_EN: 0
; COMPUTE_PGM_RSRC2:TIDIG_COMP_CNT: 0
; COMPUTE_PGM_RSRC3_GFX90A:ACCUM_OFFSET: 9
; COMPUTE_PGM_RSRC3_GFX90A:TG_SPLIT: 0
	.section	.text._Z20warp_exchange_kernelILj256ELj16ELj64EN6common25BlockedToStripedShuffleOpEnEvPT3_j,"axG",@progbits,_Z20warp_exchange_kernelILj256ELj16ELj64EN6common25BlockedToStripedShuffleOpEnEvPT3_j,comdat
	.protected	_Z20warp_exchange_kernelILj256ELj16ELj64EN6common25BlockedToStripedShuffleOpEnEvPT3_j ; -- Begin function _Z20warp_exchange_kernelILj256ELj16ELj64EN6common25BlockedToStripedShuffleOpEnEvPT3_j
	.globl	_Z20warp_exchange_kernelILj256ELj16ELj64EN6common25BlockedToStripedShuffleOpEnEvPT3_j
	.p2align	8
	.type	_Z20warp_exchange_kernelILj256ELj16ELj64EN6common25BlockedToStripedShuffleOpEnEvPT3_j,@function
_Z20warp_exchange_kernelILj256ELj16ELj64EN6common25BlockedToStripedShuffleOpEnEvPT3_j: ; @_Z20warp_exchange_kernelILj256ELj16ELj64EN6common25BlockedToStripedShuffleOpEnEvPT3_j
; %bb.0:
	s_load_dword s3, s[0:1], 0x8
	v_lshlrev_b32_e32 v64, 4, v0
	v_or_b32_e32 v56, 1, v64
	v_or_b32_e32 v44, 2, v64
	;; [unrolled: 1-line block ×14, first 2 shown]
	s_waitcnt lgkmcnt(0)
	s_cmp_eq_u32 s3, 0
	v_or_b32_e32 v12, 15, v64
	v_mov_b32_e32 v65, 0
	s_cbranch_scc1 .LBB121_4
; %bb.1:
	v_mbcnt_lo_u32_b32 v1, -1, 0
	v_mbcnt_hi_u32_b32 v1, -1, v1
	v_and_b32_e32 v2, 3, v1
	v_mov_b32_e32 v3, 0
	v_lshl_add_u32 v66, v2, 4, v3
	v_add_u32_e32 v5, -1, v1
	v_xor_b32_e32 v2, 2, v2
	v_and_b32_e32 v5, 3, v5
	v_lshl_add_u32 v68, v2, 4, v3
	v_add_u32_e32 v2, 3, v2
	v_lshl_add_u32 v67, v5, 4, v3
	v_and_b32_e32 v5, 3, v2
	v_lshlrev_b32_e32 v2, 4, v2
	v_lshl_add_u32 v69, v5, 4, v3
	v_or_b32_e32 v3, 64, v2
	v_or_b32_e32 v2, 0xc0, v2
	v_add_u32_e32 v70, 0, v3
	v_add_u32_e32 v71, 0, v2
	v_and_b32_e32 v2, 64, v1
	v_add_u32_e32 v3, 60, v1
	v_and_or_b32 v3, v3, 63, v2
	v_lshlrev_b32_e32 v72, 2, v3
	v_add_u32_e32 v3, 56, v1
	v_and_or_b32 v3, v3, 63, v2
	v_lshlrev_b32_e32 v73, 2, v3
	;; [unrolled: 3-line block ×7, first 2 shown]
	v_lshlrev_b32_e32 v3, 2, v1
	v_xor_b32_e32 v79, 0x80, v3
	v_add_u32_e32 v3, 28, v1
	v_and_or_b32 v3, v3, 63, v2
	v_lshlrev_b32_e32 v80, 2, v3
	v_add_u32_e32 v3, 24, v1
	v_and_or_b32 v3, v3, 63, v2
	v_lshlrev_b32_e32 v81, 2, v3
	;; [unrolled: 3-line block ×7, first 2 shown]
	v_lshrrev_b32_e32 v2, 2, v1
	v_add_u32_e32 v5, -1, v2
	v_mov_b32_e32 v3, 0x100
	v_and_b32_e32 v5, 15, v5
	v_lshl_add_u32 v88, v5, 4, v3
	v_add_u32_e32 v5, 14, v2
	v_and_b32_e32 v5, 15, v5
	v_lshl_add_u32 v89, v5, 4, v3
	v_add_u32_e32 v5, 13, v2
	;; [unrolled: 3-line block ×4, first 2 shown]
	v_and_b32_e32 v5, 15, v5
	v_bfe_u32 v1, v1, 2, 4
	v_lshl_add_u32 v92, v5, 4, v3
	v_add_u32_e32 v5, 10, v2
	v_add_u32_e32 v2, 9, v2
	v_lshl_add_u32 v87, v1, 4, v3
	v_and_b32_e32 v2, 15, v2
	v_xor_b32_e32 v1, 8, v1
	v_lshl_add_u32 v94, v2, 4, v3
	v_add_u32_e32 v2, -1, v1
	v_and_b32_e32 v2, 15, v2
	v_lshl_add_u32 v96, v2, 4, v3
	v_add_u32_e32 v2, 14, v1
	v_and_b32_e32 v2, 15, v2
	v_lshl_add_u32 v97, v2, 4, v3
	v_add_u32_e32 v2, 13, v1
	;; [unrolled: 3-line block ×4, first 2 shown]
	v_and_b32_e32 v2, 15, v2
	v_lshl_add_u32 v95, v1, 4, v3
	v_lshl_add_u32 v100, v2, 4, v3
	v_add_u32_e32 v2, 10, v1
	v_add_u32_e32 v1, 9, v1
	v_mov_b64_e32 v[14:15], 0
	v_and_b32_e32 v5, 15, v5
	v_and_b32_e32 v2, 15, v2
	;; [unrolled: 1-line block ×3, first 2 shown]
	v_mov_b32_e32 v13, v65
	v_mov_b32_e32 v9, v65
	v_mov_b32_e32 v17, v65
	v_mov_b32_e32 v53, v65
	v_mov_b32_e32 v21, v65
	v_mov_b32_e32 v25, v65
	v_mov_b32_e32 v29, v65
	v_lshl_add_u32 v93, v5, 4, v3
	v_lshl_add_u32 v101, v2, 4, v3
	;; [unrolled: 1-line block ×3, first 2 shown]
	v_mov_b64_e32 v[10:11], v[14:15]
	v_mov_b64_e32 v[18:19], v[14:15]
	;; [unrolled: 1-line block ×6, first 2 shown]
	v_mov_b32_e32 v41, v65
	v_mov_b64_e32 v[42:43], v[14:15]
	v_mov_b32_e32 v1, v65
	v_mov_b64_e32 v[2:3], v[14:15]
	v_mov_b32_e32 v6, v65
	v_mov_b32_e32 v7, v65
	;; [unrolled: 1-line block ×6, first 2 shown]
	v_mov_b64_e32 v[50:51], v[14:15]
	v_mov_b32_e32 v37, v65
	v_mov_b32_e32 v38, v65
	v_mov_b32_e32 v39, v65
	v_mov_b32_e32 v45, v65
	v_mov_b32_e32 v46, v65
	v_mov_b32_e32 v47, v65
	v_mov_b32_e32 v57, v65
	v_mov_b32_e32 v58, v65
	v_mov_b32_e32 v59, v65
	v_mov_b64_e32 v[62:63], 0
	v_mov_b64_e32 v[60:61], v[64:65]
.LBB121_2:                              ; =>This Inner Loop Header: Depth=1
	s_waitcnt lgkmcnt(0)
	scratch_store_dwordx4 off, v[12:15], off offset:240
	scratch_load_dwordx2 v[104:105], off, off offset:248
	v_mov_b32_dpp v44, v44 quad_perm:[2,3,0,1] row_mask:0xf bank_mask:0xf
	scratch_store_dwordx4 off, v[20:23], off offset:176
	scratch_load_dwordx2 v[106:107], off, off offset:184
	s_waitcnt vmcnt(4)
	scratch_store_dwordx4 off, v[60:63], off
	scratch_store_dwordx4 off, v[48:51], off offset:64
	scratch_store_dwordx4 off, v[40:43], off offset:128
	;; [unrolled: 1-line block ×3, first 2 shown]
	v_mov_b32_dpp v48, v12 quad_perm:[1,2,3,0] row_mask:0xf bank_mask:0xf
	v_mov_b32_dpp v40, v56 quad_perm:[3,0,1,2] row_mask:0xf bank_mask:0xf
	;; [unrolled: 1-line block ×21, first 2 shown]
	scratch_store_dwordx4 off, v[40:43], off offset:16
	scratch_store_dwordx4 off, v[44:47], off offset:32
	;; [unrolled: 1-line block ×4, first 2 shown]
	v_mov_b32_dpp v28, v28 quad_perm:[3,0,1,2] row_mask:0xf bank_mask:0xf
	v_mov_b32_dpp v29, v29 quad_perm:[3,0,1,2] row_mask:0xf bank_mask:0xf
	;; [unrolled: 1-line block ×22, first 2 shown]
	s_add_i32 s3, s3, -1
	s_cmp_eq_u32 s3, 0
	s_waitcnt vmcnt(10)
	v_mov_b32_dpp v50, v104 quad_perm:[1,2,3,0] row_mask:0xf bank_mask:0xf
	v_mov_b32_dpp v51, v105 quad_perm:[1,2,3,0] row_mask:0xf bank_mask:0xf
	scratch_store_dwordx4 off, v[48:51], off offset:240
	scratch_load_dwordx4 v[40:43], v67, off offset:192
	s_nop 0
	scratch_store_dwordx4 off, v[36:39], off offset:48
	scratch_store_dwordx4 off, v[28:31], off offset:144
	scratch_store_dwordx4 off, v[22:25], off offset:160
	s_waitcnt vmcnt(13)
	v_mov_b32_dpp v16, v106 quad_perm:[1,2,3,0] row_mask:0xf bank_mask:0xf
	v_mov_b32_dpp v17, v107 quad_perm:[1,2,3,0] row_mask:0xf bank_mask:0xf
	scratch_load_dwordx4 v[36:39], v68, off
	s_nop 0
	scratch_store_dwordx4 off, v[14:17], off offset:176
	scratch_load_dwordx4 v[8:11], v68, off offset:128
	s_nop 0
	scratch_load_dwordx4 v[16:19], v68, off offset:192
	scratch_load_dwordx4 v[12:15], v71, off
	s_nop 0
	scratch_store_dwordx4 off, v[32:35], off offset:80
	scratch_store_dwordx4 off, v[4:7], off offset:96
	;; [unrolled: 1-line block ×3, first 2 shown]
	scratch_load_dwordx4 v[44:47], v68, off offset:64
	s_nop 0
	scratch_load_dwordx4 v[4:7], v69, off offset:128
	scratch_load_dwordx4 v[0:3], v70, off
	scratch_load_dwordx4 v[48:51], v66, off offset:64
	scratch_load_dwordx4 v[52:55], v67, off
	;; [unrolled: 2-line block ×3, first 2 shown]
	scratch_load_dwordx4 v[24:27], v66, off offset:128
	scratch_load_dwordx4 v[28:31], v66, off offset:192
	;; [unrolled: 1-line block ×3, first 2 shown]
	s_waitcnt vmcnt(21)
	scratch_store_dwordx4 off, v[40:43], off offset:368
	scratch_load_dwordx4 v[32:35], off, off offset:368
	s_waitcnt vmcnt(19)
	scratch_store_dwordx4 off, v[36:39], off offset:384
	scratch_load_dwordx4 v[40:43], off, off offset:384
	s_waitcnt vmcnt(2)
	v_mov_b32_dpp v32, v32 quad_perm:[1,2,3,0] row_mask:0xf bank_mask:0xf
	scratch_store_dwordx4 off, v[8:11], off offset:416
	scratch_load_dwordx3 v[108:110], off, off offset:420
	s_nop 0
	scratch_store_dwordx4 off, v[16:19], off offset:432
	scratch_store_dwordx4 off, v[12:15], off offset:496
	scratch_load_dwordx3 v[36:38], off, off offset:436
	s_nop 0
	scratch_load_dword v15, off, off offset:508
	v_mov_b32_dpp v18, v20 quad_perm:[1,2,3,0] row_mask:0xf bank_mask:0xf
	scratch_store_dwordx4 off, v[44:47], off offset:400
	scratch_load_dwordx4 v[44:47], off, off offset:400
	v_mov_b32_dpp v19, v21 quad_perm:[1,2,3,0] row_mask:0xf bank_mask:0xf
	scratch_store_dwordx4 off, v[4:7], off offset:480
	scratch_load_dword v7, off, off offset:492
	v_mov_b32_dpp v20, v22 quad_perm:[1,2,3,0] row_mask:0xf bank_mask:0xf
	scratch_store_dwordx4 off, v[0:3], off offset:464
	scratch_load_dword v3, off, off offset:476
	s_nop 0
	scratch_load_dwordx4 v[104:107], v66, off
	v_mov_b32_dpp v21, v23 quad_perm:[1,2,3,0] row_mask:0xf bank_mask:0xf
	scratch_store_dwordx4 off, v[48:51], off offset:272
	v_mov_b32_dpp v33, v33 quad_perm:[1,2,3,0] row_mask:0xf bank_mask:0xf
	v_mov_b32_dpp v34, v34 quad_perm:[1,2,3,0] row_mask:0xf bank_mask:0xf
	;; [unrolled: 1-line block ×10, first 2 shown]
	scratch_store_dwordx4 off, v[48:51], off offset:320
	scratch_store_dwordx4 off, v[52:55], off offset:336
	scratch_load_dwordx4 v[48:51], off, off offset:272
	s_nop 0
	scratch_load_dwordx4 v[52:55], off, off offset:336
	s_nop 0
	scratch_store_dwordx4 off, v[24:27], off offset:288
	scratch_store_dwordx4 off, v[28:31], off offset:304
	scratch_load_dwordx4 v[24:27], off, off offset:288
	v_mov_b32_dpp v56, v60 quad_perm:[3,0,1,2] row_mask:0xf bank_mask:0xf
	scratch_load_dwordx4 v[28:31], off, off offset:304
	v_mov_b32_dpp v57, v61 quad_perm:[3,0,1,2] row_mask:0xf bank_mask:0xf
	v_mov_b32_dpp v58, v62 quad_perm:[3,0,1,2] row_mask:0xf bank_mask:0xf
	;; [unrolled: 1-line block ×3, first 2 shown]
	scratch_load_dwordx4 v[60:63], off, off offset:320
	v_mov_b32_dpp v35, v35 quad_perm:[1,2,3,0] row_mask:0xf bank_mask:0xf
	scratch_store_dwordx4 off, v[18:21], off offset:352
	scratch_load_dwordx4 v[20:23], off, off offset:352
	s_waitcnt vmcnt(25)
	v_mov_b32_dpp v40, v40 quad_perm:[2,3,0,1] row_mask:0xf bank_mask:0xf
	scratch_store_dwordx4 off, v[56:59], off offset:448
	scratch_load_dwordx4 v[56:59], off, off offset:448
	v_mov_b32_dpp v41, v41 quad_perm:[2,3,0,1] row_mask:0xf bank_mask:0xf
	v_mov_b32_dpp v42, v42 quad_perm:[2,3,0,1] row_mask:0xf bank_mask:0xf
	;; [unrolled: 1-line block ×3, first 2 shown]
	scratch_store_dwordx4 off, v[32:35], off offset:368
	v_mov_b32_dpp v8, v8 quad_perm:[2,3,0,1] row_mask:0xf bank_mask:0xf
	scratch_load_dwordx4 v[32:35], off, off offset:368
	v_mov_b32_dpp v12, v12 quad_perm:[3,0,1,2] row_mask:0xf bank_mask:0xf
	scratch_store_dwordx4 off, v[40:43], off offset:384
	scratch_load_dwordx4 v[40:43], off, off offset:384
	v_mov_b32_dpp v13, v13 quad_perm:[3,0,1,2] row_mask:0xf bank_mask:0xf
	v_mov_b32_dpp v14, v14 quad_perm:[3,0,1,2] row_mask:0xf bank_mask:0xf
	;; [unrolled: 1-line block ×9, first 2 shown]
	s_waitcnt vmcnt(29)
	v_mov_b32_dpp v9, v108 quad_perm:[2,3,0,1] row_mask:0xf bank_mask:0xf
	v_mov_b32_dpp v10, v109 quad_perm:[2,3,0,1] row_mask:0xf bank_mask:0xf
	;; [unrolled: 1-line block ×3, first 2 shown]
	s_waitcnt vmcnt(25)
	v_mov_b32_dpp v15, v15 quad_perm:[3,0,1,2] row_mask:0xf bank_mask:0xf
	scratch_store_dwordx4 off, v[8:11], off offset:416
	scratch_load_dwordx4 v[8:11], off, off offset:416
	v_mov_b32_dpp v17, v36 quad_perm:[2,3,0,1] row_mask:0xf bank_mask:0xf
	scratch_store_dwordx4 off, v[12:15], off offset:496
	scratch_load_dwordx4 v[108:111], off, off offset:496
	v_mov_b32_dpp v18, v37 quad_perm:[2,3,0,1] row_mask:0xf bank_mask:0xf
	s_waitcnt vmcnt(27)
	v_mov_b32_dpp v12, v44 quad_perm:[2,3,0,1] row_mask:0xf bank_mask:0xf
	v_mov_b32_dpp v13, v45 quad_perm:[2,3,0,1] row_mask:0xf bank_mask:0xf
	;; [unrolled: 1-line block ×4, first 2 shown]
	scratch_store_dwordx4 off, v[12:15], off offset:400
	scratch_load_dwordx4 v[12:15], off, off offset:400
	v_mov_b32_dpp v19, v38 quad_perm:[2,3,0,1] row_mask:0xf bank_mask:0xf
	s_waitcnt vmcnt(27)
	v_mov_b32_dpp v7, v7 quad_perm:[3,0,1,2] row_mask:0xf bank_mask:0xf
	s_waitcnt vmcnt(25)
	v_mov_b32_dpp v3, v3 quad_perm:[3,0,1,2] row_mask:0xf bank_mask:0xf
	scratch_store_dwordx4 off, v[16:19], off offset:432
	scratch_store_dwordx4 off, v[4:7], off offset:480
	;; [unrolled: 1-line block ×3, first 2 shown]
	scratch_load_dwordx4 v[16:19], off, off offset:432
	s_waitcnt vmcnt(24)
	ds_bpermute_b32 v36, v72, v48
	scratch_load_dwordx4 v[4:7], off, off offset:480
	scratch_load_dwordx4 v[0:3], off, off offset:464
	ds_bpermute_b32 v37, v72, v49
	ds_bpermute_b32 v38, v72, v50
	ds_bpermute_b32 v39, v72, v51
	s_waitcnt vmcnt(25)
	ds_bpermute_b32 v44, v76, v52
	ds_bpermute_b32 v45, v76, v53
	ds_bpermute_b32 v46, v76, v54
	ds_bpermute_b32 v47, v76, v55
	s_waitcnt vmcnt(22)
	ds_bpermute_b32 v24, v73, v24
	;; [unrolled: 5-line block ×3, first 2 shown]
	ds_bpermute_b32 v29, v74, v29
	ds_bpermute_b32 v30, v74, v30
	;; [unrolled: 1-line block ×3, first 2 shown]
	scratch_store_dwordx4 off, v[104:107], off offset:256
	s_waitcnt lgkmcnt(12)
	scratch_store_dwordx4 off, v[36:39], off offset:272
	s_waitcnt lgkmcnt(8)
	scratch_store_dwordx4 off, v[44:47], off offset:336
	s_waitcnt vmcnt(23)
	ds_bpermute_b32 v36, v75, v60
	ds_bpermute_b32 v37, v75, v61
	ds_bpermute_b32 v38, v75, v62
	ds_bpermute_b32 v39, v75, v63
	s_waitcnt vmcnt(21)
	ds_bpermute_b32 v20, v77, v20
	ds_bpermute_b32 v21, v77, v21
	ds_bpermute_b32 v22, v77, v22
	ds_bpermute_b32 v23, v77, v23
	;; [unrolled: 5-line block ×3, first 2 shown]
	s_waitcnt lgkmcnt(14)
	scratch_store_dwordx4 off, v[24:27], off offset:288
	s_waitcnt lgkmcnt(12)
	scratch_store_dwordx4 off, v[28:31], off offset:304
	;; [unrolled: 2-line block ×5, first 2 shown]
	s_waitcnt vmcnt(22)
	ds_bpermute_b32 v20, v78, v32
	ds_bpermute_b32 v21, v78, v33
	ds_bpermute_b32 v22, v78, v34
	ds_bpermute_b32 v23, v78, v35
	s_waitcnt vmcnt(20)
	ds_bpermute_b32 v24, v79, v40
	ds_bpermute_b32 v25, v79, v41
	ds_bpermute_b32 v26, v79, v42
	ds_bpermute_b32 v27, v79, v43
	;; [unrolled: 5-line block ×8, first 2 shown]
	s_waitcnt lgkmcnt(14)
	scratch_store_dwordx4 off, v[20:23], off offset:368
	scratch_store_dwordx4 off, v[24:27], off offset:384
	;; [unrolled: 1-line block ×4, first 2 shown]
	s_waitcnt lgkmcnt(12)
	scratch_store_dwordx4 off, v[12:15], off offset:400
	s_waitcnt lgkmcnt(8)
	scratch_store_dwordx4 off, v[16:19], off offset:432
	;; [unrolled: 2-line block ×4, first 2 shown]
	scratch_load_dwordx4 v[0:3], v88, off
	s_nop 0
	scratch_load_dwordx4 v[4:7], v89, off
	scratch_load_dwordx4 v[8:11], v90, off
	;; [unrolled: 1-line block ×15, first 2 shown]
	; wave barrier
	s_waitcnt vmcnt(15)
	ds_bpermute_b32 v56, v86, v0
	ds_bpermute_b32 v57, v86, v1
	ds_bpermute_b32 v58, v86, v2
	ds_bpermute_b32 v59, v86, v3
	s_waitcnt vmcnt(14)
	ds_bpermute_b32 v44, v85, v4
	ds_bpermute_b32 v45, v85, v5
	ds_bpermute_b32 v46, v85, v6
	ds_bpermute_b32 v47, v85, v7
	;; [unrolled: 5-line block ×15, first 2 shown]
	s_cbranch_scc0 .LBB121_2
; %bb.3:
	s_waitcnt lgkmcnt(14)
	v_mov_b32_e32 v5, v65
	s_branch .LBB121_5
.LBB121_4:
	v_mov_b64_e32 v[62:63], 0
	v_mov_b64_e32 v[14:15], 0
	v_mov_b32_e32 v57, v65
	v_mov_b32_e32 v45, v65
	;; [unrolled: 1-line block ×13, first 2 shown]
	v_mov_b64_e32 v[60:61], v[64:65]
	v_mov_b64_e32 v[58:59], v[62:63]
	;; [unrolled: 1-line block ×13, first 2 shown]
	v_mov_b32_e32 v17, v65
	v_mov_b64_e32 v[18:19], v[62:63]
	v_mov_b32_e32 v9, v65
	v_mov_b64_e32 v[10:11], v[62:63]
.LBB121_5:
	s_load_dwordx2 s[0:1], s[0:1], 0x0
	v_lshl_or_b32 v64, s2, 12, v64
	v_mov_b32_e32 v65, 0
	s_waitcnt lgkmcnt(0)
	v_lshl_add_u64 v[64:65], v[64:65], 4, s[0:1]
	s_waitcnt vmcnt(0)
	global_store_dwordx4 v[64:65], v[60:63], off
	global_store_dwordx4 v[64:65], v[56:59], off offset:16
	global_store_dwordx4 v[64:65], v[44:47], off offset:32
	;; [unrolled: 1-line block ×15, first 2 shown]
	s_endpgm
	.section	.rodata,"a",@progbits
	.p2align	6, 0x0
	.amdhsa_kernel _Z20warp_exchange_kernelILj256ELj16ELj64EN6common25BlockedToStripedShuffleOpEnEvPT3_j
		.amdhsa_group_segment_fixed_size 0
		.amdhsa_private_segment_fixed_size 528
		.amdhsa_kernarg_size 12
		.amdhsa_user_sgpr_count 2
		.amdhsa_user_sgpr_dispatch_ptr 0
		.amdhsa_user_sgpr_queue_ptr 0
		.amdhsa_user_sgpr_kernarg_segment_ptr 1
		.amdhsa_user_sgpr_dispatch_id 0
		.amdhsa_user_sgpr_kernarg_preload_length 0
		.amdhsa_user_sgpr_kernarg_preload_offset 0
		.amdhsa_user_sgpr_private_segment_size 0
		.amdhsa_uses_dynamic_stack 0
		.amdhsa_enable_private_segment 1
		.amdhsa_system_sgpr_workgroup_id_x 1
		.amdhsa_system_sgpr_workgroup_id_y 0
		.amdhsa_system_sgpr_workgroup_id_z 0
		.amdhsa_system_sgpr_workgroup_info 0
		.amdhsa_system_vgpr_workitem_id 0
		.amdhsa_next_free_vgpr 128
		.amdhsa_next_free_sgpr 4
		.amdhsa_accum_offset 128
		.amdhsa_reserve_vcc 0
		.amdhsa_float_round_mode_32 0
		.amdhsa_float_round_mode_16_64 0
		.amdhsa_float_denorm_mode_32 3
		.amdhsa_float_denorm_mode_16_64 3
		.amdhsa_dx10_clamp 1
		.amdhsa_ieee_mode 1
		.amdhsa_fp16_overflow 0
		.amdhsa_tg_split 0
		.amdhsa_exception_fp_ieee_invalid_op 0
		.amdhsa_exception_fp_denorm_src 0
		.amdhsa_exception_fp_ieee_div_zero 0
		.amdhsa_exception_fp_ieee_overflow 0
		.amdhsa_exception_fp_ieee_underflow 0
		.amdhsa_exception_fp_ieee_inexact 0
		.amdhsa_exception_int_div_zero 0
	.end_amdhsa_kernel
	.section	.text._Z20warp_exchange_kernelILj256ELj16ELj64EN6common25BlockedToStripedShuffleOpEnEvPT3_j,"axG",@progbits,_Z20warp_exchange_kernelILj256ELj16ELj64EN6common25BlockedToStripedShuffleOpEnEvPT3_j,comdat
.Lfunc_end121:
	.size	_Z20warp_exchange_kernelILj256ELj16ELj64EN6common25BlockedToStripedShuffleOpEnEvPT3_j, .Lfunc_end121-_Z20warp_exchange_kernelILj256ELj16ELj64EN6common25BlockedToStripedShuffleOpEnEvPT3_j
                                        ; -- End function
	.section	.AMDGPU.csdata,"",@progbits
; Kernel info:
; codeLenInByte = 4060
; NumSgprs: 10
; NumVgprs: 128
; NumAgprs: 0
; TotalNumVgprs: 128
; ScratchSize: 528
; MemoryBound: 0
; FloatMode: 240
; IeeeMode: 1
; LDSByteSize: 0 bytes/workgroup (compile time only)
; SGPRBlocks: 1
; VGPRBlocks: 15
; NumSGPRsForWavesPerEU: 10
; NumVGPRsForWavesPerEU: 128
; AccumOffset: 128
; Occupancy: 4
; WaveLimiterHint : 1
; COMPUTE_PGM_RSRC2:SCRATCH_EN: 1
; COMPUTE_PGM_RSRC2:USER_SGPR: 2
; COMPUTE_PGM_RSRC2:TRAP_HANDLER: 0
; COMPUTE_PGM_RSRC2:TGID_X_EN: 1
; COMPUTE_PGM_RSRC2:TGID_Y_EN: 0
; COMPUTE_PGM_RSRC2:TGID_Z_EN: 0
; COMPUTE_PGM_RSRC2:TIDIG_COMP_CNT: 0
; COMPUTE_PGM_RSRC3_GFX90A:ACCUM_OFFSET: 31
; COMPUTE_PGM_RSRC3_GFX90A:TG_SPLIT: 0
	.section	.text._Z20warp_exchange_kernelILj256ELj1ELj64EN6common25StripedToBlockedShuffleOpEnEvPT3_j,"axG",@progbits,_Z20warp_exchange_kernelILj256ELj1ELj64EN6common25StripedToBlockedShuffleOpEnEvPT3_j,comdat
	.protected	_Z20warp_exchange_kernelILj256ELj1ELj64EN6common25StripedToBlockedShuffleOpEnEvPT3_j ; -- Begin function _Z20warp_exchange_kernelILj256ELj1ELj64EN6common25StripedToBlockedShuffleOpEnEvPT3_j
	.globl	_Z20warp_exchange_kernelILj256ELj1ELj64EN6common25StripedToBlockedShuffleOpEnEvPT3_j
	.p2align	8
	.type	_Z20warp_exchange_kernelILj256ELj1ELj64EN6common25StripedToBlockedShuffleOpEnEvPT3_j,@function
_Z20warp_exchange_kernelILj256ELj1ELj64EN6common25StripedToBlockedShuffleOpEnEvPT3_j: ; @_Z20warp_exchange_kernelILj256ELj1ELj64EN6common25StripedToBlockedShuffleOpEnEvPT3_j
; %bb.0:
	s_load_dword s3, s[0:1], 0x8
	v_mov_b32_e32 v5, 0
	s_waitcnt lgkmcnt(0)
	s_cmp_eq_u32 s3, 0
	s_cbranch_scc1 .LBB122_3
; %bb.1:
	v_mbcnt_lo_u32_b32 v1, -1, 0
	v_mbcnt_hi_u32_b32 v1, -1, v1
	v_lshlrev_b32_e32 v1, 2, v1
	v_mov_b32_e32 v2, v0
	v_mov_b32_e32 v3, 0
	;; [unrolled: 1-line block ×3, first 2 shown]
.LBB122_2:                              ; =>This Inner Loop Header: Depth=1
	s_waitcnt lgkmcnt(3)
	ds_bpermute_b32 v2, v1, v2
	s_waitcnt lgkmcnt(3)
	ds_bpermute_b32 v3, v1, v3
	s_waitcnt lgkmcnt(3)
	ds_bpermute_b32 v4, v1, v4
	s_waitcnt lgkmcnt(3)
	ds_bpermute_b32 v5, v1, v5
	s_add_i32 s3, s3, -1
	s_cmp_lg_u32 s3, 0
	; wave barrier
	s_cbranch_scc1 .LBB122_2
	s_branch .LBB122_4
.LBB122_3:
	v_mov_b32_e32 v2, v0
	v_mov_b32_e32 v3, 0
	;; [unrolled: 1-line block ×3, first 2 shown]
.LBB122_4:
	s_load_dwordx2 s[0:1], s[0:1], 0x0
	v_lshl_or_b32 v0, s2, 8, v0
	v_mov_b32_e32 v1, 0
	s_waitcnt lgkmcnt(0)
	v_lshl_add_u64 v[0:1], v[0:1], 4, s[0:1]
	global_store_dwordx4 v[0:1], v[2:5], off
	s_endpgm
	.section	.rodata,"a",@progbits
	.p2align	6, 0x0
	.amdhsa_kernel _Z20warp_exchange_kernelILj256ELj1ELj64EN6common25StripedToBlockedShuffleOpEnEvPT3_j
		.amdhsa_group_segment_fixed_size 0
		.amdhsa_private_segment_fixed_size 0
		.amdhsa_kernarg_size 12
		.amdhsa_user_sgpr_count 2
		.amdhsa_user_sgpr_dispatch_ptr 0
		.amdhsa_user_sgpr_queue_ptr 0
		.amdhsa_user_sgpr_kernarg_segment_ptr 1
		.amdhsa_user_sgpr_dispatch_id 0
		.amdhsa_user_sgpr_kernarg_preload_length 0
		.amdhsa_user_sgpr_kernarg_preload_offset 0
		.amdhsa_user_sgpr_private_segment_size 0
		.amdhsa_uses_dynamic_stack 0
		.amdhsa_enable_private_segment 0
		.amdhsa_system_sgpr_workgroup_id_x 1
		.amdhsa_system_sgpr_workgroup_id_y 0
		.amdhsa_system_sgpr_workgroup_id_z 0
		.amdhsa_system_sgpr_workgroup_info 0
		.amdhsa_system_vgpr_workitem_id 0
		.amdhsa_next_free_vgpr 6
		.amdhsa_next_free_sgpr 4
		.amdhsa_accum_offset 8
		.amdhsa_reserve_vcc 0
		.amdhsa_float_round_mode_32 0
		.amdhsa_float_round_mode_16_64 0
		.amdhsa_float_denorm_mode_32 3
		.amdhsa_float_denorm_mode_16_64 3
		.amdhsa_dx10_clamp 1
		.amdhsa_ieee_mode 1
		.amdhsa_fp16_overflow 0
		.amdhsa_tg_split 0
		.amdhsa_exception_fp_ieee_invalid_op 0
		.amdhsa_exception_fp_denorm_src 0
		.amdhsa_exception_fp_ieee_div_zero 0
		.amdhsa_exception_fp_ieee_overflow 0
		.amdhsa_exception_fp_ieee_underflow 0
		.amdhsa_exception_fp_ieee_inexact 0
		.amdhsa_exception_int_div_zero 0
	.end_amdhsa_kernel
	.section	.text._Z20warp_exchange_kernelILj256ELj1ELj64EN6common25StripedToBlockedShuffleOpEnEvPT3_j,"axG",@progbits,_Z20warp_exchange_kernelILj256ELj1ELj64EN6common25StripedToBlockedShuffleOpEnEvPT3_j,comdat
.Lfunc_end122:
	.size	_Z20warp_exchange_kernelILj256ELj1ELj64EN6common25StripedToBlockedShuffleOpEnEvPT3_j, .Lfunc_end122-_Z20warp_exchange_kernelILj256ELj1ELj64EN6common25StripedToBlockedShuffleOpEnEvPT3_j
                                        ; -- End function
	.section	.AMDGPU.csdata,"",@progbits
; Kernel info:
; codeLenInByte = 176
; NumSgprs: 10
; NumVgprs: 6
; NumAgprs: 0
; TotalNumVgprs: 6
; ScratchSize: 0
; MemoryBound: 0
; FloatMode: 240
; IeeeMode: 1
; LDSByteSize: 0 bytes/workgroup (compile time only)
; SGPRBlocks: 1
; VGPRBlocks: 0
; NumSGPRsForWavesPerEU: 10
; NumVGPRsForWavesPerEU: 6
; AccumOffset: 8
; Occupancy: 8
; WaveLimiterHint : 0
; COMPUTE_PGM_RSRC2:SCRATCH_EN: 0
; COMPUTE_PGM_RSRC2:USER_SGPR: 2
; COMPUTE_PGM_RSRC2:TRAP_HANDLER: 0
; COMPUTE_PGM_RSRC2:TGID_X_EN: 1
; COMPUTE_PGM_RSRC2:TGID_Y_EN: 0
; COMPUTE_PGM_RSRC2:TGID_Z_EN: 0
; COMPUTE_PGM_RSRC2:TIDIG_COMP_CNT: 0
; COMPUTE_PGM_RSRC3_GFX90A:ACCUM_OFFSET: 1
; COMPUTE_PGM_RSRC3_GFX90A:TG_SPLIT: 0
	.section	.text._Z20warp_exchange_kernelILj256ELj4ELj64EN6common25StripedToBlockedShuffleOpEnEvPT3_j,"axG",@progbits,_Z20warp_exchange_kernelILj256ELj4ELj64EN6common25StripedToBlockedShuffleOpEnEvPT3_j,comdat
	.protected	_Z20warp_exchange_kernelILj256ELj4ELj64EN6common25StripedToBlockedShuffleOpEnEvPT3_j ; -- Begin function _Z20warp_exchange_kernelILj256ELj4ELj64EN6common25StripedToBlockedShuffleOpEnEvPT3_j
	.globl	_Z20warp_exchange_kernelILj256ELj4ELj64EN6common25StripedToBlockedShuffleOpEnEvPT3_j
	.p2align	8
	.type	_Z20warp_exchange_kernelILj256ELj4ELj64EN6common25StripedToBlockedShuffleOpEnEvPT3_j,@function
_Z20warp_exchange_kernelILj256ELj4ELj64EN6common25StripedToBlockedShuffleOpEnEvPT3_j: ; @_Z20warp_exchange_kernelILj256ELj4ELj64EN6common25StripedToBlockedShuffleOpEnEvPT3_j
; %bb.0:
	s_load_dword s3, s[0:1], 0x8
	v_lshlrev_b32_e32 v16, 2, v0
	v_mov_b32_e32 v17, 0
	v_or_b32_e32 v22, 1, v16
	v_or_b32_e32 v20, 2, v16
	s_waitcnt lgkmcnt(0)
	s_cmp_eq_u32 s3, 0
	v_or_b32_e32 v18, 3, v16
	s_cbranch_scc1 .LBB123_27
; %bb.1:
	v_mbcnt_lo_u32_b32 v0, -1, 0
	v_mbcnt_hi_u32_b32 v0, -1, v0
	v_lshlrev_b32_e32 v1, 2, v0
	v_and_b32_e32 v2, 64, v0
	v_and_or_b32 v1, v1, 60, v2
	v_lshrrev_b32_e32 v2, 4, v0
	v_lshlrev_b32_e32 v26, 2, v1
	v_cmp_gt_u32_e32 vcc, 16, v0
	v_cmp_eq_u32_e64 s[8:9], 1, v2
	v_cmp_eq_u32_e64 s[4:5], 2, v2
	;; [unrolled: 1-line block ×3, first 2 shown]
	v_or_b32_e32 v27, 4, v26
	v_or_b32_e32 v28, 8, v26
	;; [unrolled: 1-line block ×3, first 2 shown]
	v_mov_b32_e32 v30, 0
	v_mov_b32_e32 v31, 0
	;; [unrolled: 1-line block ×12, first 2 shown]
	s_branch .LBB123_3
.LBB123_2:                              ;   in Loop: Header=BB123_3 Depth=1
	s_or_b64 exec, exec, s[10:11]
	s_add_i32 s3, s3, -1
	s_cmp_lg_u32 s3, 0
	s_waitcnt lgkmcnt(3)
	v_mov_b32_e32 v18, v12
	v_mov_b32_e32 v17, v13
	;; [unrolled: 1-line block ×4, first 2 shown]
	s_waitcnt lgkmcnt(1)
	v_mov_b32_e32 v20, v8
	v_mov_b32_e32 v19, v9
	;; [unrolled: 1-line block ×5, first 2 shown]
	s_waitcnt lgkmcnt(0)
	v_mov_b32_e32 v21, v5
	v_mov_b32_e32 v24, v6
	v_mov_b32_e32 v25, v7
	v_mov_b32_e32 v23, v0
	v_mov_b32_e32 v34, v1
	v_mov_b32_e32 v35, v2
	v_mov_b32_e32 v36, v3
	; wave barrier
	s_cbranch_scc0 .LBB123_28
.LBB123_3:                              ; =>This Inner Loop Header: Depth=1
	ds_bpermute_b32 v0, v26, v23
	ds_bpermute_b32 v1, v26, v34
	;; [unrolled: 1-line block ×4, first 2 shown]
	s_and_saveexec_b64 s[10:11], vcc
	s_or_b64 exec, exec, s[10:11]
	ds_bpermute_b32 v4, v26, v22
	ds_bpermute_b32 v5, v26, v21
	;; [unrolled: 1-line block ×4, first 2 shown]
	s_and_saveexec_b64 s[10:11], s[8:9]
	s_cbranch_execz .LBB123_5
; %bb.4:                                ;   in Loop: Header=BB123_3 Depth=1
	s_waitcnt lgkmcnt(2)
	v_mov_b64_e32 v[0:1], v[4:5]
	s_waitcnt lgkmcnt(0)
	v_mov_b64_e32 v[2:3], v[6:7]
.LBB123_5:                              ;   in Loop: Header=BB123_3 Depth=1
	s_or_b64 exec, exec, s[10:11]
	s_waitcnt lgkmcnt(3)
	ds_bpermute_b32 v4, v26, v20
	s_waitcnt lgkmcnt(3)
	ds_bpermute_b32 v5, v26, v19
	s_waitcnt lgkmcnt(3)
	ds_bpermute_b32 v6, v26, v32
	s_waitcnt lgkmcnt(3)
	ds_bpermute_b32 v7, v26, v33
	s_and_saveexec_b64 s[10:11], s[4:5]
	s_cbranch_execz .LBB123_7
; %bb.6:                                ;   in Loop: Header=BB123_3 Depth=1
	s_waitcnt lgkmcnt(2)
	v_mov_b64_e32 v[0:1], v[4:5]
	s_waitcnt lgkmcnt(0)
	v_mov_b64_e32 v[2:3], v[6:7]
.LBB123_7:                              ;   in Loop: Header=BB123_3 Depth=1
	s_or_b64 exec, exec, s[10:11]
	s_waitcnt lgkmcnt(3)
	ds_bpermute_b32 v4, v26, v18
	s_waitcnt lgkmcnt(3)
	ds_bpermute_b32 v5, v26, v17
	s_waitcnt lgkmcnt(3)
	ds_bpermute_b32 v6, v26, v30
	s_waitcnt lgkmcnt(3)
	ds_bpermute_b32 v7, v26, v31
	;; [unrolled: 17-line block ×3, first 2 shown]
	s_and_saveexec_b64 s[10:11], vcc
	s_or_b64 exec, exec, s[10:11]
	ds_bpermute_b32 v8, v27, v22
	ds_bpermute_b32 v9, v27, v21
	;; [unrolled: 1-line block ×4, first 2 shown]
	s_and_saveexec_b64 s[10:11], s[8:9]
	s_cbranch_execz .LBB123_11
; %bb.10:                               ;   in Loop: Header=BB123_3 Depth=1
	s_waitcnt lgkmcnt(2)
	v_mov_b64_e32 v[4:5], v[8:9]
	s_waitcnt lgkmcnt(0)
	v_mov_b64_e32 v[6:7], v[10:11]
.LBB123_11:                             ;   in Loop: Header=BB123_3 Depth=1
	s_or_b64 exec, exec, s[10:11]
	s_waitcnt lgkmcnt(3)
	ds_bpermute_b32 v8, v27, v20
	s_waitcnt lgkmcnt(3)
	ds_bpermute_b32 v9, v27, v19
	s_waitcnt lgkmcnt(3)
	ds_bpermute_b32 v10, v27, v32
	s_waitcnt lgkmcnt(3)
	ds_bpermute_b32 v11, v27, v33
	s_and_saveexec_b64 s[10:11], s[4:5]
	s_cbranch_execz .LBB123_13
; %bb.12:                               ;   in Loop: Header=BB123_3 Depth=1
	s_waitcnt lgkmcnt(2)
	v_mov_b64_e32 v[4:5], v[8:9]
	s_waitcnt lgkmcnt(0)
	v_mov_b64_e32 v[6:7], v[10:11]
.LBB123_13:                             ;   in Loop: Header=BB123_3 Depth=1
	s_or_b64 exec, exec, s[10:11]
	s_waitcnt lgkmcnt(3)
	ds_bpermute_b32 v8, v27, v18
	s_waitcnt lgkmcnt(3)
	ds_bpermute_b32 v9, v27, v17
	s_waitcnt lgkmcnt(3)
	ds_bpermute_b32 v10, v27, v30
	s_waitcnt lgkmcnt(3)
	ds_bpermute_b32 v11, v27, v31
	;; [unrolled: 17-line block ×3, first 2 shown]
	s_and_saveexec_b64 s[10:11], vcc
	s_or_b64 exec, exec, s[10:11]
	ds_bpermute_b32 v12, v28, v22
	ds_bpermute_b32 v13, v28, v21
	;; [unrolled: 1-line block ×4, first 2 shown]
	s_and_saveexec_b64 s[10:11], s[8:9]
	s_cbranch_execz .LBB123_17
; %bb.16:                               ;   in Loop: Header=BB123_3 Depth=1
	s_waitcnt lgkmcnt(2)
	v_mov_b64_e32 v[8:9], v[12:13]
	s_waitcnt lgkmcnt(0)
	v_mov_b64_e32 v[10:11], v[14:15]
.LBB123_17:                             ;   in Loop: Header=BB123_3 Depth=1
	s_or_b64 exec, exec, s[10:11]
	s_waitcnt lgkmcnt(3)
	ds_bpermute_b32 v12, v28, v20
	s_waitcnt lgkmcnt(3)
	ds_bpermute_b32 v13, v28, v19
	s_waitcnt lgkmcnt(3)
	ds_bpermute_b32 v14, v28, v32
	s_waitcnt lgkmcnt(3)
	ds_bpermute_b32 v15, v28, v33
	s_and_saveexec_b64 s[10:11], s[4:5]
	s_cbranch_execz .LBB123_19
; %bb.18:                               ;   in Loop: Header=BB123_3 Depth=1
	s_waitcnt lgkmcnt(2)
	v_mov_b64_e32 v[8:9], v[12:13]
	s_waitcnt lgkmcnt(0)
	v_mov_b64_e32 v[10:11], v[14:15]
.LBB123_19:                             ;   in Loop: Header=BB123_3 Depth=1
	s_or_b64 exec, exec, s[10:11]
	s_waitcnt lgkmcnt(3)
	ds_bpermute_b32 v12, v28, v18
	s_waitcnt lgkmcnt(3)
	ds_bpermute_b32 v13, v28, v17
	s_waitcnt lgkmcnt(3)
	ds_bpermute_b32 v14, v28, v30
	s_waitcnt lgkmcnt(3)
	ds_bpermute_b32 v15, v28, v31
	;; [unrolled: 17-line block ×3, first 2 shown]
	s_and_saveexec_b64 s[10:11], vcc
	s_or_b64 exec, exec, s[10:11]
	ds_bpermute_b32 v22, v29, v22
	ds_bpermute_b32 v23, v29, v21
	;; [unrolled: 1-line block ×4, first 2 shown]
	s_and_saveexec_b64 s[10:11], s[8:9]
	s_cbranch_execz .LBB123_23
; %bb.22:                               ;   in Loop: Header=BB123_3 Depth=1
	s_waitcnt lgkmcnt(2)
	v_mov_b64_e32 v[12:13], v[22:23]
	s_waitcnt lgkmcnt(0)
	v_mov_b64_e32 v[14:15], v[24:25]
.LBB123_23:                             ;   in Loop: Header=BB123_3 Depth=1
	s_or_b64 exec, exec, s[10:11]
	ds_bpermute_b32 v20, v29, v20
	ds_bpermute_b32 v21, v29, v19
	s_waitcnt lgkmcnt(5)
	ds_bpermute_b32 v22, v29, v32
	s_waitcnt lgkmcnt(5)
	ds_bpermute_b32 v23, v29, v33
	s_and_saveexec_b64 s[10:11], s[4:5]
	s_cbranch_execz .LBB123_25
; %bb.24:                               ;   in Loop: Header=BB123_3 Depth=1
	s_waitcnt lgkmcnt(2)
	v_mov_b64_e32 v[12:13], v[20:21]
	s_waitcnt lgkmcnt(0)
	v_mov_b64_e32 v[14:15], v[22:23]
.LBB123_25:                             ;   in Loop: Header=BB123_3 Depth=1
	s_or_b64 exec, exec, s[10:11]
	ds_bpermute_b32 v18, v29, v18
	ds_bpermute_b32 v19, v29, v17
	s_waitcnt lgkmcnt(5)
	ds_bpermute_b32 v20, v29, v30
	s_waitcnt lgkmcnt(5)
	ds_bpermute_b32 v21, v29, v31
	s_and_saveexec_b64 s[10:11], s[6:7]
	s_cbranch_execz .LBB123_2
; %bb.26:                               ;   in Loop: Header=BB123_3 Depth=1
	s_waitcnt lgkmcnt(2)
	v_mov_b64_e32 v[12:13], v[18:19]
	s_waitcnt lgkmcnt(0)
	v_mov_b64_e32 v[14:15], v[20:21]
	s_branch .LBB123_2
.LBB123_27:
	v_mov_b64_e32 v[2:3], 0
	v_mov_b32_e32 v23, v17
	v_mov_b32_e32 v21, v17
	;; [unrolled: 1-line block ×3, first 2 shown]
	v_mov_b64_e32 v[14:15], 0
	v_mov_b64_e32 v[0:1], v[16:17]
	;; [unrolled: 1-line block ×7, first 2 shown]
.LBB123_28:
	s_load_dwordx2 s[0:1], s[0:1], 0x0
	v_lshl_or_b32 v16, s2, 10, v16
	v_mov_b32_e32 v17, 0
	s_waitcnt lgkmcnt(0)
	v_lshl_add_u64 v[16:17], v[16:17], 4, s[0:1]
	global_store_dwordx4 v[16:17], v[0:3], off
	global_store_dwordx4 v[16:17], v[4:7], off offset:16
	global_store_dwordx4 v[16:17], v[8:11], off offset:32
	;; [unrolled: 1-line block ×3, first 2 shown]
	s_endpgm
	.section	.rodata,"a",@progbits
	.p2align	6, 0x0
	.amdhsa_kernel _Z20warp_exchange_kernelILj256ELj4ELj64EN6common25StripedToBlockedShuffleOpEnEvPT3_j
		.amdhsa_group_segment_fixed_size 0
		.amdhsa_private_segment_fixed_size 0
		.amdhsa_kernarg_size 12
		.amdhsa_user_sgpr_count 2
		.amdhsa_user_sgpr_dispatch_ptr 0
		.amdhsa_user_sgpr_queue_ptr 0
		.amdhsa_user_sgpr_kernarg_segment_ptr 1
		.amdhsa_user_sgpr_dispatch_id 0
		.amdhsa_user_sgpr_kernarg_preload_length 0
		.amdhsa_user_sgpr_kernarg_preload_offset 0
		.amdhsa_user_sgpr_private_segment_size 0
		.amdhsa_uses_dynamic_stack 0
		.amdhsa_enable_private_segment 0
		.amdhsa_system_sgpr_workgroup_id_x 1
		.amdhsa_system_sgpr_workgroup_id_y 0
		.amdhsa_system_sgpr_workgroup_id_z 0
		.amdhsa_system_sgpr_workgroup_info 0
		.amdhsa_system_vgpr_workitem_id 0
		.amdhsa_next_free_vgpr 37
		.amdhsa_next_free_sgpr 12
		.amdhsa_accum_offset 40
		.amdhsa_reserve_vcc 1
		.amdhsa_float_round_mode_32 0
		.amdhsa_float_round_mode_16_64 0
		.amdhsa_float_denorm_mode_32 3
		.amdhsa_float_denorm_mode_16_64 3
		.amdhsa_dx10_clamp 1
		.amdhsa_ieee_mode 1
		.amdhsa_fp16_overflow 0
		.amdhsa_tg_split 0
		.amdhsa_exception_fp_ieee_invalid_op 0
		.amdhsa_exception_fp_denorm_src 0
		.amdhsa_exception_fp_ieee_div_zero 0
		.amdhsa_exception_fp_ieee_overflow 0
		.amdhsa_exception_fp_ieee_underflow 0
		.amdhsa_exception_fp_ieee_inexact 0
		.amdhsa_exception_int_div_zero 0
	.end_amdhsa_kernel
	.section	.text._Z20warp_exchange_kernelILj256ELj4ELj64EN6common25StripedToBlockedShuffleOpEnEvPT3_j,"axG",@progbits,_Z20warp_exchange_kernelILj256ELj4ELj64EN6common25StripedToBlockedShuffleOpEnEvPT3_j,comdat
.Lfunc_end123:
	.size	_Z20warp_exchange_kernelILj256ELj4ELj64EN6common25StripedToBlockedShuffleOpEnEvPT3_j, .Lfunc_end123-_Z20warp_exchange_kernelILj256ELj4ELj64EN6common25StripedToBlockedShuffleOpEnEvPT3_j
                                        ; -- End function
	.section	.AMDGPU.csdata,"",@progbits
; Kernel info:
; codeLenInByte = 1416
; NumSgprs: 18
; NumVgprs: 37
; NumAgprs: 0
; TotalNumVgprs: 37
; ScratchSize: 0
; MemoryBound: 0
; FloatMode: 240
; IeeeMode: 1
; LDSByteSize: 0 bytes/workgroup (compile time only)
; SGPRBlocks: 2
; VGPRBlocks: 4
; NumSGPRsForWavesPerEU: 18
; NumVGPRsForWavesPerEU: 37
; AccumOffset: 40
; Occupancy: 8
; WaveLimiterHint : 0
; COMPUTE_PGM_RSRC2:SCRATCH_EN: 0
; COMPUTE_PGM_RSRC2:USER_SGPR: 2
; COMPUTE_PGM_RSRC2:TRAP_HANDLER: 0
; COMPUTE_PGM_RSRC2:TGID_X_EN: 1
; COMPUTE_PGM_RSRC2:TGID_Y_EN: 0
; COMPUTE_PGM_RSRC2:TGID_Z_EN: 0
; COMPUTE_PGM_RSRC2:TIDIG_COMP_CNT: 0
; COMPUTE_PGM_RSRC3_GFX90A:ACCUM_OFFSET: 9
; COMPUTE_PGM_RSRC3_GFX90A:TG_SPLIT: 0
	.section	.text._Z20warp_exchange_kernelILj256ELj16ELj64EN6common25StripedToBlockedShuffleOpEnEvPT3_j,"axG",@progbits,_Z20warp_exchange_kernelILj256ELj16ELj64EN6common25StripedToBlockedShuffleOpEnEvPT3_j,comdat
	.protected	_Z20warp_exchange_kernelILj256ELj16ELj64EN6common25StripedToBlockedShuffleOpEnEvPT3_j ; -- Begin function _Z20warp_exchange_kernelILj256ELj16ELj64EN6common25StripedToBlockedShuffleOpEnEvPT3_j
	.globl	_Z20warp_exchange_kernelILj256ELj16ELj64EN6common25StripedToBlockedShuffleOpEnEvPT3_j
	.p2align	8
	.type	_Z20warp_exchange_kernelILj256ELj16ELj64EN6common25StripedToBlockedShuffleOpEnEvPT3_j,@function
_Z20warp_exchange_kernelILj256ELj16ELj64EN6common25StripedToBlockedShuffleOpEnEvPT3_j: ; @_Z20warp_exchange_kernelILj256ELj16ELj64EN6common25StripedToBlockedShuffleOpEnEvPT3_j
; %bb.0:
	s_load_dword s3, s[0:1], 0x8
	v_lshlrev_b32_e32 v64, 4, v0
	v_or_b32_e32 v56, 1, v64
	v_or_b32_e32 v52, 2, v64
	;; [unrolled: 1-line block ×14, first 2 shown]
	s_waitcnt lgkmcnt(0)
	s_cmp_eq_u32 s3, 0
	v_or_b32_e32 v4, 15, v64
	s_cbranch_scc1 .LBB124_3
; %bb.1:
	v_mbcnt_lo_u32_b32 v2, -1, 0
	v_mbcnt_hi_u32_b32 v2, -1, v2
	v_and_b32_e32 v3, 64, v2
	v_add_u32_e32 v10, 60, v2
	v_and_or_b32 v10, v10, 63, v3
	v_lshlrev_b32_e32 v66, 2, v10
	v_add_u32_e32 v10, 56, v2
	v_and_or_b32 v10, v10, 63, v3
	v_lshlrev_b32_e32 v67, 2, v10
	;; [unrolled: 3-line block ×7, first 2 shown]
	v_lshlrev_b32_e32 v10, 2, v2
	v_xor_b32_e32 v73, 0x80, v10
	v_add_u32_e32 v10, 28, v2
	v_and_or_b32 v10, v10, 63, v3
	v_lshlrev_b32_e32 v74, 2, v10
	v_add_u32_e32 v10, 24, v2
	v_and_or_b32 v10, v10, 63, v3
	v_lshlrev_b32_e32 v75, 2, v10
	;; [unrolled: 3-line block ×7, first 2 shown]
	v_lshrrev_b32_e32 v3, 2, v2
	v_add_u32_e32 v14, -1, v3
	v_mov_b32_e32 v11, 0
	v_and_b32_e32 v14, 15, v14
	v_lshl_add_u32 v82, v14, 4, v11
	v_add_u32_e32 v14, 14, v3
	v_and_b32_e32 v14, 15, v14
	v_lshl_add_u32 v83, v14, 4, v11
	v_add_u32_e32 v14, 13, v3
	;; [unrolled: 3-line block ×5, first 2 shown]
	v_add_u32_e32 v3, 9, v3
	v_bfe_u32 v10, v2, 2, 4
	v_and_b32_e32 v3, 15, v3
	v_lshl_add_u32 v88, v3, 4, v11
	v_xor_b32_e32 v3, 8, v10
	v_lshl_add_u32 v81, v10, 4, v11
	v_add_u32_e32 v10, -1, v3
	v_and_b32_e32 v10, 15, v10
	v_lshl_add_u32 v90, v10, 4, v11
	v_add_u32_e32 v10, 14, v3
	v_and_b32_e32 v10, 15, v10
	v_lshl_add_u32 v91, v10, 4, v11
	v_add_u32_e32 v10, 13, v3
	;; [unrolled: 3-line block ×4, first 2 shown]
	v_and_b32_e32 v10, 15, v10
	v_lshl_add_u32 v89, v3, 4, v11
	v_lshl_add_u32 v94, v10, 4, v11
	v_add_u32_e32 v10, 10, v3
	v_add_u32_e32 v3, 9, v3
	v_and_b32_e32 v3, 15, v3
	v_and_b32_e32 v10, 15, v10
	v_lshl_add_u32 v96, v3, 4, v11
	v_and_b32_e32 v3, 3, v2
	v_add_u32_e32 v2, -1, v2
	v_lshl_add_u32 v95, v10, 4, v11
	v_mov_b32_e32 v10, 0x100
	v_and_b32_e32 v2, 3, v2
	v_lshl_add_u32 v98, v2, 4, v10
	v_xor_b32_e32 v2, 2, v3
	v_lshl_add_u32 v99, v2, 4, v10
	v_add_u32_e32 v2, 3, v2
	v_mov_b32_e32 v5, 0
	v_lshl_add_u32 v97, v3, 4, v10
	v_and_b32_e32 v3, 3, v2
	v_lshlrev_b32_e32 v2, 4, v2
	v_mov_b64_e32 v[6:7], 0
	v_mov_b32_e32 v65, v5
	v_and_b32_e32 v14, 15, v14
	v_lshl_add_u32 v100, v3, 4, v10
	v_or_b32_e32 v3, 64, v2
	v_or_b32_e32 v2, 0xc0, v2
	v_mov_b32_e32 v9, v5
	v_mov_b32_e32 v13, v5
	;; [unrolled: 1-line block ×6, first 2 shown]
	v_lshl_add_u32 v87, v14, 4, v11
	v_add_u32_e32 v101, 0x100, v3
	v_add_u32_e32 v102, 0x100, v2
	v_mov_b64_e32 v[10:11], v[6:7]
	v_mov_b64_e32 v[14:15], v[6:7]
	;; [unrolled: 1-line block ×6, first 2 shown]
	v_mov_b32_e32 v17, v5
	v_mov_b64_e32 v[18:19], v[6:7]
	v_mov_b32_e32 v37, v5
	v_mov_b64_e32 v[38:39], v[6:7]
	;; [unrolled: 2-line block ×8, first 2 shown]
	v_mov_b64_e32 v[62:63], 0
	v_mov_b64_e32 v[60:61], v[64:65]
.LBB124_2:                              ; =>This Inner Loop Header: Depth=1
	s_waitcnt vmcnt(8)
	scratch_store_dwordx4 off, v[60:63], off
	scratch_store_dwordx4 off, v[56:59], off offset:16
	scratch_store_dwordx4 off, v[52:55], off offset:32
	scratch_store_dwordx4 off, v[48:51], off offset:48
	s_waitcnt vmcnt(11)
	scratch_store_dwordx4 off, v[32:35], off offset:64
	scratch_store_dwordx4 off, v[44:47], off offset:80
	scratch_store_dwordx4 off, v[40:43], off offset:96
	scratch_store_dwordx4 off, v[36:39], off offset:112
	s_waitcnt vmcnt(14)
	scratch_store_dwordx4 off, v[16:19], off offset:128
	;; [unrolled: 5-line block ×3, first 2 shown]
	scratch_store_dwordx4 off, v[12:15], off offset:208
	scratch_store_dwordx4 off, v[8:11], off offset:224
	;; [unrolled: 1-line block ×3, first 2 shown]
	ds_bpermute_b32 v56, v66, v56
	ds_bpermute_b32 v57, v66, v57
	;; [unrolled: 1-line block ×60, first 2 shown]
	scratch_store_dwordx4 v81, v[60:63], off
	s_waitcnt lgkmcnt(14)
	scratch_store_dwordx4 v82, v[56:59], off
	scratch_store_dwordx4 v83, v[52:55], off
	;; [unrolled: 1-line block ×11, first 2 shown]
	s_waitcnt lgkmcnt(12)
	scratch_store_dwordx4 v93, v[0:3], off
	s_waitcnt lgkmcnt(8)
	scratch_store_dwordx4 v94, v[12:15], off
	;; [unrolled: 2-line block ×4, first 2 shown]
	scratch_load_dwordx4 v[0:3], off, off offset:16
	s_nop 0
	scratch_load_dwordx4 v[4:7], off, off offset:32
	scratch_load_dwordx4 v[8:11], off, off offset:48
	;; [unrolled: 1-line block ×14, first 2 shown]
	scratch_load_dwordx4 v[116:119], off, off
	s_add_i32 s3, s3, -1
	s_cmp_lg_u32 s3, 0
	s_waitcnt vmcnt(15)
	ds_bpermute_b32 v34, v80, v2
	ds_bpermute_b32 v35, v80, v3
	s_waitcnt vmcnt(14)
	ds_bpermute_b32 v2, v79, v6
	s_waitcnt vmcnt(12)
	ds_bpermute_b32 v28, v77, v12
	ds_bpermute_b32 v29, v77, v13
	ds_bpermute_b32 v30, v77, v14
	ds_bpermute_b32 v31, v77, v15
	s_waitcnt vmcnt(8)
	ds_bpermute_b32 v44, v70, v44
	ds_bpermute_b32 v45, v70, v45
	ds_bpermute_b32 v46, v70, v46
	;; [unrolled: 5-line block ×3, first 2 shown]
	ds_bpermute_b32 v15, v73, v51
	s_waitcnt lgkmcnt(4)
	scratch_store_dwordx4 off, v[44:47], off offset:176
	scratch_load_dwordx2 v[132:133], off, off offset:184
	ds_bpermute_b32 v3, v79, v7
	ds_bpermute_b32 v6, v75, v26
	;; [unrolled: 1-line block ×3, first 2 shown]
	s_waitcnt vmcnt(7)
	ds_bpermute_b32 v26, v71, v58
	ds_bpermute_b32 v27, v71, v59
	s_waitcnt vmcnt(6)
	ds_bpermute_b32 v58, v69, v60
	ds_bpermute_b32 v59, v69, v61
	;; [unrolled: 1-line block ×14, first 2 shown]
	s_waitcnt vmcnt(5)
	ds_bpermute_b32 v62, v68, v104
	ds_bpermute_b32 v63, v68, v105
	;; [unrolled: 1-line block ×10, first 2 shown]
	s_waitcnt vmcnt(4)
	ds_bpermute_b32 v120, v67, v108
	ds_bpermute_b32 v121, v67, v109
	;; [unrolled: 1-line block ×12, first 2 shown]
	v_mov_b32_dpp v40, v28 quad_perm:[3,0,1,2] row_mask:0xf bank_mask:0xf
	v_mov_b32_dpp v41, v29 quad_perm:[3,0,1,2] row_mask:0xf bank_mask:0xf
	;; [unrolled: 1-line block ×4, first 2 shown]
	s_waitcnt lgkmcnt(14)
	v_mov_b32_dpp v104, v12 quad_perm:[2,3,0,1] row_mask:0xf bank_mask:0xf
	v_mov_b32_dpp v105, v13 quad_perm:[2,3,0,1] row_mask:0xf bank_mask:0xf
	;; [unrolled: 1-line block ×4, first 2 shown]
	s_waitcnt vmcnt(3)
	ds_bpermute_b32 v134, v66, v112
	ds_bpermute_b32 v135, v66, v113
	v_mov_b32_dpp v58, v58 quad_perm:[1,2,3,0] row_mask:0xf bank_mask:0xf
	v_mov_b32_dpp v59, v59 quad_perm:[1,2,3,0] row_mask:0xf bank_mask:0xf
	;; [unrolled: 1-line block ×3, first 2 shown]
	s_waitcnt vmcnt(2)
	scratch_store_dwordx4 v97, v[116:119], off
	scratch_store_dwordx4 v98, v[40:43], off
	v_mov_b32_dpp v61, v61 quad_perm:[1,2,3,0] row_mask:0xf bank_mask:0xf
	scratch_store_dwordx4 v99, v[104:107], off
	scratch_store_dwordx4 v100, v[58:61], off
	ds_bpermute_b32 v136, v66, v114
	ds_bpermute_b32 v140, v66, v115
	v_mov_b32_dpp v46, v36 quad_perm:[3,0,1,2] row_mask:0xf bank_mask:0xf
	v_mov_b32_dpp v47, v37 quad_perm:[3,0,1,2] row_mask:0xf bank_mask:0xf
	;; [unrolled: 1-line block ×8, first 2 shown]
	scratch_load_dwordx4 v[104:107], off, off offset:272
	scratch_load_dwordx4 v[112:115], off, off offset:288
	s_nop 0
	scratch_store_dwordx4 v97, v[32:35], off offset:64
	scratch_store_dwordx4 v98, v[46:49], off offset:64
	v_mov_b32_dpp v58, v62 quad_perm:[1,2,3,0] row_mask:0xf bank_mask:0xf
	v_mov_b32_dpp v59, v63 quad_perm:[1,2,3,0] row_mask:0xf bank_mask:0xf
	;; [unrolled: 1-line block ×3, first 2 shown]
	scratch_load_dwordx4 v[116:119], off, off offset:304
	v_mov_b32_dpp v61, v103 quad_perm:[1,2,3,0] row_mask:0xf bank_mask:0xf
	scratch_store_dwordx4 v99, v[108:111], off offset:64
	scratch_store_dwordx4 v101, v[58:61], off
	v_mov_b32_dpp v50, v4 quad_perm:[3,0,1,2] row_mask:0xf bank_mask:0xf
	v_mov_b32_dpp v51, v5 quad_perm:[3,0,1,2] row_mask:0xf bank_mask:0xf
	;; [unrolled: 1-line block ×4, first 2 shown]
	s_waitcnt lgkmcnt(14)
	v_mov_b32_dpp v40, v24 quad_perm:[2,3,0,1] row_mask:0xf bank_mask:0xf
	v_mov_b32_dpp v41, v25 quad_perm:[2,3,0,1] row_mask:0xf bank_mask:0xf
	;; [unrolled: 1-line block ×4, first 2 shown]
	scratch_load_dwordx4 v[108:111], off, off offset:336
	v_mov_b32_dpp v58, v120 quad_perm:[1,2,3,0] row_mask:0xf bank_mask:0xf
	v_mov_b32_dpp v59, v121 quad_perm:[1,2,3,0] row_mask:0xf bank_mask:0xf
	s_waitcnt lgkmcnt(13)
	v_mov_b32_dpp v60, v122 quad_perm:[1,2,3,0] row_mask:0xf bank_mask:0xf
	scratch_load_dwordx4 v[120:123], off, off offset:352
	s_nop 0
	scratch_store_dwordx4 v97, v[0:3], off offset:128
	scratch_store_dwordx4 v98, v[50:53], off offset:128
	scratch_load_dwordx4 v[124:127], off, off offset:368
	s_waitcnt lgkmcnt(4)
	v_mov_b32_dpp v61, v128 quad_perm:[1,2,3,0] row_mask:0xf bank_mask:0xf
	scratch_store_dwordx4 v99, v[40:43], off offset:128
	scratch_store_dwordx4 v100, v[58:61], off offset:128
	v_mov_b32_dpp v54, v8 quad_perm:[3,0,1,2] row_mask:0xf bank_mask:0xf
	v_mov_b32_dpp v55, v9 quad_perm:[3,0,1,2] row_mask:0xf bank_mask:0xf
	;; [unrolled: 1-line block ×6, first 2 shown]
	s_waitcnt vmcnt(18)
	v_mov_b32_dpp v46, v132 quad_perm:[2,3,0,1] row_mask:0xf bank_mask:0xf
	scratch_load_dwordx4 v[128:131], off, off offset:400
	v_mov_b32_dpp v47, v133 quad_perm:[2,3,0,1] row_mask:0xf bank_mask:0xf
	s_waitcnt lgkmcnt(3)
	v_mov_b32_dpp v40, v134 quad_perm:[1,2,3,0] row_mask:0xf bank_mask:0xf
	s_waitcnt lgkmcnt(2)
	v_mov_b32_dpp v41, v135 quad_perm:[1,2,3,0] row_mask:0xf bank_mask:0xf
	scratch_load_dwordx4 v[132:135], off, off offset:416
	s_nop 0
	scratch_store_dwordx4 v97, v[16:19], off offset:192
	scratch_store_dwordx4 v98, v[54:57], off offset:192
	s_waitcnt lgkmcnt(1)
	v_mov_b32_dpp v42, v136 quad_perm:[1,2,3,0] row_mask:0xf bank_mask:0xf
	scratch_load_dwordx4 v[136:139], off, off offset:432
	s_waitcnt lgkmcnt(0)
	v_mov_b32_dpp v43, v140 quad_perm:[1,2,3,0] row_mask:0xf bank_mask:0xf
	scratch_store_dwordx4 v99, v[44:47], off offset:192
	scratch_store_dwordx4 v102, v[40:43], off
	scratch_load_dwordx4 v[140:143], off, off offset:464
	scratch_load_dwordx4 v[144:147], off, off offset:480
	;; [unrolled: 1-line block ×3, first 2 shown]
	s_waitcnt vmcnt(23)
	v_mov_b32_dpp v56, v104 quad_perm:[1,2,3,0] row_mask:0xf bank_mask:0xf
	scratch_store_dwordx4 off, v[32:35], off offset:16
	scratch_store_dwordx4 off, v[0:3], off offset:32
	;; [unrolled: 1-line block ×5, first 2 shown]
	scratch_load_dwordx4 v[60:63], off, off offset:256
	scratch_load_dwordx4 v[32:35], off, off offset:320
	s_nop 0
	scratch_load_dwordx4 v[16:19], off, off offset:384
	scratch_load_dwordx4 v[0:3], off, off offset:448
	s_nop 0
	scratch_store_dwordx4 off, v[4:7], off offset:96
	scratch_store_dwordx4 off, v[8:11], off offset:112
	;; [unrolled: 1-line block ×5, first 2 shown]
	v_mov_b32_dpp v57, v105 quad_perm:[1,2,3,0] row_mask:0xf bank_mask:0xf
	v_mov_b32_dpp v58, v106 quad_perm:[1,2,3,0] row_mask:0xf bank_mask:0xf
	v_mov_b32_dpp v59, v107 quad_perm:[1,2,3,0] row_mask:0xf bank_mask:0xf
	s_waitcnt vmcnt(36)
	v_mov_b32_dpp v52, v112 quad_perm:[2,3,0,1] row_mask:0xf bank_mask:0xf
	v_mov_b32_dpp v53, v113 quad_perm:[2,3,0,1] row_mask:0xf bank_mask:0xf
	v_mov_b32_dpp v54, v114 quad_perm:[2,3,0,1] row_mask:0xf bank_mask:0xf
	v_mov_b32_dpp v55, v115 quad_perm:[2,3,0,1] row_mask:0xf bank_mask:0xf
	s_waitcnt vmcnt(33)
	v_mov_b32_dpp v48, v116 quad_perm:[3,0,1,2] row_mask:0xf bank_mask:0xf
	v_mov_b32_dpp v49, v117 quad_perm:[3,0,1,2] row_mask:0xf bank_mask:0xf
	v_mov_b32_dpp v50, v118 quad_perm:[3,0,1,2] row_mask:0xf bank_mask:0xf
	v_mov_b32_dpp v51, v119 quad_perm:[3,0,1,2] row_mask:0xf bank_mask:0xf
	s_waitcnt vmcnt(30)
	v_mov_b32_dpp v44, v108 quad_perm:[1,2,3,0] row_mask:0xf bank_mask:0xf
	v_mov_b32_dpp v45, v109 quad_perm:[1,2,3,0] row_mask:0xf bank_mask:0xf
	v_mov_b32_dpp v46, v110 quad_perm:[1,2,3,0] row_mask:0xf bank_mask:0xf
	v_mov_b32_dpp v47, v111 quad_perm:[1,2,3,0] row_mask:0xf bank_mask:0xf
	s_waitcnt vmcnt(29)
	v_mov_b32_dpp v40, v120 quad_perm:[2,3,0,1] row_mask:0xf bank_mask:0xf
	v_mov_b32_dpp v41, v121 quad_perm:[2,3,0,1] row_mask:0xf bank_mask:0xf
	v_mov_b32_dpp v42, v122 quad_perm:[2,3,0,1] row_mask:0xf bank_mask:0xf
	v_mov_b32_dpp v43, v123 quad_perm:[2,3,0,1] row_mask:0xf bank_mask:0xf
	s_waitcnt vmcnt(26)
	v_mov_b32_dpp v36, v124 quad_perm:[3,0,1,2] row_mask:0xf bank_mask:0xf
	v_mov_b32_dpp v37, v125 quad_perm:[3,0,1,2] row_mask:0xf bank_mask:0xf
	v_mov_b32_dpp v38, v126 quad_perm:[3,0,1,2] row_mask:0xf bank_mask:0xf
	;; [unrolled: 1-line block ×3, first 2 shown]
	; wave barrier
	s_waitcnt vmcnt(23)
	v_mov_b32_dpp v28, v128 quad_perm:[1,2,3,0] row_mask:0xf bank_mask:0xf
	v_mov_b32_dpp v29, v129 quad_perm:[1,2,3,0] row_mask:0xf bank_mask:0xf
	v_mov_b32_dpp v30, v130 quad_perm:[1,2,3,0] row_mask:0xf bank_mask:0xf
	v_mov_b32_dpp v31, v131 quad_perm:[1,2,3,0] row_mask:0xf bank_mask:0xf
	s_waitcnt vmcnt(22)
	v_mov_b32_dpp v24, v132 quad_perm:[2,3,0,1] row_mask:0xf bank_mask:0xf
	v_mov_b32_dpp v25, v133 quad_perm:[2,3,0,1] row_mask:0xf bank_mask:0xf
	v_mov_b32_dpp v26, v134 quad_perm:[2,3,0,1] row_mask:0xf bank_mask:0xf
	v_mov_b32_dpp v27, v135 quad_perm:[2,3,0,1] row_mask:0xf bank_mask:0xf
	;; [unrolled: 5-line block ×6, first 2 shown]
	s_cbranch_scc1 .LBB124_2
	s_branch .LBB124_4
.LBB124_3:
	v_mov_b32_e32 v65, 0
	v_mov_b64_e32 v[62:63], 0
	v_mov_b64_e32 v[6:7], 0
	v_mov_b32_e32 v57, v65
	v_mov_b32_e32 v53, v65
	;; [unrolled: 1-line block ×13, first 2 shown]
	v_mov_b64_e32 v[60:61], v[64:65]
	v_mov_b64_e32 v[58:59], v[62:63]
	;; [unrolled: 1-line block ×13, first 2 shown]
	v_mov_b32_e32 v13, v65
	v_mov_b64_e32 v[14:15], v[62:63]
	v_mov_b32_e32 v9, v65
	v_mov_b64_e32 v[10:11], v[62:63]
.LBB124_4:
	s_load_dwordx2 s[0:1], s[0:1], 0x0
	v_lshl_or_b32 v64, s2, 12, v64
	v_mov_b32_e32 v65, 0
	s_waitcnt lgkmcnt(0)
	v_lshl_add_u64 v[64:65], v[64:65], 4, s[0:1]
	s_waitcnt vmcnt(8)
	global_store_dwordx4 v[64:65], v[60:63], off
	global_store_dwordx4 v[64:65], v[56:59], off offset:16
	global_store_dwordx4 v[64:65], v[52:55], off offset:32
	global_store_dwordx4 v[64:65], v[48:51], off offset:48
	s_waitcnt vmcnt(11)
	global_store_dwordx4 v[64:65], v[32:35], off offset:64
	global_store_dwordx4 v[64:65], v[44:47], off offset:80
	global_store_dwordx4 v[64:65], v[40:43], off offset:96
	global_store_dwordx4 v[64:65], v[36:39], off offset:112
	s_waitcnt vmcnt(14)
	global_store_dwordx4 v[64:65], v[16:19], off offset:128
	;; [unrolled: 5-line block ×3, first 2 shown]
	global_store_dwordx4 v[64:65], v[12:15], off offset:208
	global_store_dwordx4 v[64:65], v[8:11], off offset:224
	;; [unrolled: 1-line block ×3, first 2 shown]
	s_endpgm
	.section	.rodata,"a",@progbits
	.p2align	6, 0x0
	.amdhsa_kernel _Z20warp_exchange_kernelILj256ELj16ELj64EN6common25StripedToBlockedShuffleOpEnEvPT3_j
		.amdhsa_group_segment_fixed_size 0
		.amdhsa_private_segment_fixed_size 528
		.amdhsa_kernarg_size 12
		.amdhsa_user_sgpr_count 2
		.amdhsa_user_sgpr_dispatch_ptr 0
		.amdhsa_user_sgpr_queue_ptr 0
		.amdhsa_user_sgpr_kernarg_segment_ptr 1
		.amdhsa_user_sgpr_dispatch_id 0
		.amdhsa_user_sgpr_kernarg_preload_length 0
		.amdhsa_user_sgpr_kernarg_preload_offset 0
		.amdhsa_user_sgpr_private_segment_size 0
		.amdhsa_uses_dynamic_stack 0
		.amdhsa_enable_private_segment 1
		.amdhsa_system_sgpr_workgroup_id_x 1
		.amdhsa_system_sgpr_workgroup_id_y 0
		.amdhsa_system_sgpr_workgroup_id_z 0
		.amdhsa_system_sgpr_workgroup_info 0
		.amdhsa_system_vgpr_workitem_id 0
		.amdhsa_next_free_vgpr 152
		.amdhsa_next_free_sgpr 4
		.amdhsa_accum_offset 152
		.amdhsa_reserve_vcc 0
		.amdhsa_float_round_mode_32 0
		.amdhsa_float_round_mode_16_64 0
		.amdhsa_float_denorm_mode_32 3
		.amdhsa_float_denorm_mode_16_64 3
		.amdhsa_dx10_clamp 1
		.amdhsa_ieee_mode 1
		.amdhsa_fp16_overflow 0
		.amdhsa_tg_split 0
		.amdhsa_exception_fp_ieee_invalid_op 0
		.amdhsa_exception_fp_denorm_src 0
		.amdhsa_exception_fp_ieee_div_zero 0
		.amdhsa_exception_fp_ieee_overflow 0
		.amdhsa_exception_fp_ieee_underflow 0
		.amdhsa_exception_fp_ieee_inexact 0
		.amdhsa_exception_int_div_zero 0
	.end_amdhsa_kernel
	.section	.text._Z20warp_exchange_kernelILj256ELj16ELj64EN6common25StripedToBlockedShuffleOpEnEvPT3_j,"axG",@progbits,_Z20warp_exchange_kernelILj256ELj16ELj64EN6common25StripedToBlockedShuffleOpEnEvPT3_j,comdat
.Lfunc_end124:
	.size	_Z20warp_exchange_kernelILj256ELj16ELj64EN6common25StripedToBlockedShuffleOpEnEvPT3_j, .Lfunc_end124-_Z20warp_exchange_kernelILj256ELj16ELj64EN6common25StripedToBlockedShuffleOpEnEvPT3_j
                                        ; -- End function
	.section	.AMDGPU.csdata,"",@progbits
; Kernel info:
; codeLenInByte = 3812
; NumSgprs: 10
; NumVgprs: 152
; NumAgprs: 0
; TotalNumVgprs: 152
; ScratchSize: 528
; MemoryBound: 0
; FloatMode: 240
; IeeeMode: 1
; LDSByteSize: 0 bytes/workgroup (compile time only)
; SGPRBlocks: 1
; VGPRBlocks: 18
; NumSGPRsForWavesPerEU: 10
; NumVGPRsForWavesPerEU: 152
; AccumOffset: 152
; Occupancy: 3
; WaveLimiterHint : 1
; COMPUTE_PGM_RSRC2:SCRATCH_EN: 1
; COMPUTE_PGM_RSRC2:USER_SGPR: 2
; COMPUTE_PGM_RSRC2:TRAP_HANDLER: 0
; COMPUTE_PGM_RSRC2:TGID_X_EN: 1
; COMPUTE_PGM_RSRC2:TGID_Y_EN: 0
; COMPUTE_PGM_RSRC2:TGID_Z_EN: 0
; COMPUTE_PGM_RSRC2:TIDIG_COMP_CNT: 0
; COMPUTE_PGM_RSRC3_GFX90A:ACCUM_OFFSET: 37
; COMPUTE_PGM_RSRC3_GFX90A:TG_SPLIT: 0
	.section	.text._Z20warp_exchange_kernelILj256ELj1ELj64E18ScatterToStripedOpnEvPT3_j,"axG",@progbits,_Z20warp_exchange_kernelILj256ELj1ELj64E18ScatterToStripedOpnEvPT3_j,comdat
	.protected	_Z20warp_exchange_kernelILj256ELj1ELj64E18ScatterToStripedOpnEvPT3_j ; -- Begin function _Z20warp_exchange_kernelILj256ELj1ELj64E18ScatterToStripedOpnEvPT3_j
	.globl	_Z20warp_exchange_kernelILj256ELj1ELj64E18ScatterToStripedOpnEvPT3_j
	.p2align	8
	.type	_Z20warp_exchange_kernelILj256ELj1ELj64E18ScatterToStripedOpnEvPT3_j,@function
_Z20warp_exchange_kernelILj256ELj1ELj64E18ScatterToStripedOpnEvPT3_j: ; @_Z20warp_exchange_kernelILj256ELj1ELj64E18ScatterToStripedOpnEvPT3_j
; %bb.0:
	s_load_dword s3, s[0:1], 0x8
	v_mov_b32_e32 v1, 0
	s_waitcnt lgkmcnt(0)
	s_cmp_eq_u32 s3, 0
	s_cbranch_scc1 .LBB125_3
; %bb.1:
	v_not_b32_e32 v2, v0
	v_lshlrev_b32_e32 v3, 4, v0
	v_mbcnt_lo_u32_b32 v6, -1, 0
	v_and_b32_e32 v2, 63, v2
	v_and_b32_e32 v3, 0xc00, v3
	v_mbcnt_hi_u32_b32 v7, -1, v6
	v_mov_b64_e32 v[4:5], 0
	v_lshl_or_b32 v6, v2, 4, v3
	v_lshl_add_u32 v7, v7, 4, v3
	v_mov_b64_e32 v[2:3], v[0:1]
.LBB125_2:                              ; =>This Inner Loop Header: Depth=1
	s_waitcnt lgkmcnt(0)
	ds_write_b128 v6, v[2:5]
	; wave barrier
	ds_read_b128 v[2:5], v7
	s_add_i32 s3, s3, -1
	s_cmp_lg_u32 s3, 0
	; wave barrier
	s_cbranch_scc1 .LBB125_2
	s_branch .LBB125_4
.LBB125_3:
	v_mov_b64_e32 v[4:5], 0
	v_mov_b64_e32 v[2:3], v[0:1]
.LBB125_4:
	s_load_dwordx2 s[0:1], s[0:1], 0x0
	v_lshl_or_b32 v0, s2, 8, v0
	v_mov_b32_e32 v1, 0
	s_waitcnt lgkmcnt(0)
	v_lshl_add_u64 v[0:1], v[0:1], 4, s[0:1]
	global_store_dwordx4 v[0:1], v[2:5], off
	s_endpgm
	.section	.rodata,"a",@progbits
	.p2align	6, 0x0
	.amdhsa_kernel _Z20warp_exchange_kernelILj256ELj1ELj64E18ScatterToStripedOpnEvPT3_j
		.amdhsa_group_segment_fixed_size 4096
		.amdhsa_private_segment_fixed_size 0
		.amdhsa_kernarg_size 12
		.amdhsa_user_sgpr_count 2
		.amdhsa_user_sgpr_dispatch_ptr 0
		.amdhsa_user_sgpr_queue_ptr 0
		.amdhsa_user_sgpr_kernarg_segment_ptr 1
		.amdhsa_user_sgpr_dispatch_id 0
		.amdhsa_user_sgpr_kernarg_preload_length 0
		.amdhsa_user_sgpr_kernarg_preload_offset 0
		.amdhsa_user_sgpr_private_segment_size 0
		.amdhsa_uses_dynamic_stack 0
		.amdhsa_enable_private_segment 0
		.amdhsa_system_sgpr_workgroup_id_x 1
		.amdhsa_system_sgpr_workgroup_id_y 0
		.amdhsa_system_sgpr_workgroup_id_z 0
		.amdhsa_system_sgpr_workgroup_info 0
		.amdhsa_system_vgpr_workitem_id 0
		.amdhsa_next_free_vgpr 8
		.amdhsa_next_free_sgpr 4
		.amdhsa_accum_offset 8
		.amdhsa_reserve_vcc 0
		.amdhsa_float_round_mode_32 0
		.amdhsa_float_round_mode_16_64 0
		.amdhsa_float_denorm_mode_32 3
		.amdhsa_float_denorm_mode_16_64 3
		.amdhsa_dx10_clamp 1
		.amdhsa_ieee_mode 1
		.amdhsa_fp16_overflow 0
		.amdhsa_tg_split 0
		.amdhsa_exception_fp_ieee_invalid_op 0
		.amdhsa_exception_fp_denorm_src 0
		.amdhsa_exception_fp_ieee_div_zero 0
		.amdhsa_exception_fp_ieee_overflow 0
		.amdhsa_exception_fp_ieee_underflow 0
		.amdhsa_exception_fp_ieee_inexact 0
		.amdhsa_exception_int_div_zero 0
	.end_amdhsa_kernel
	.section	.text._Z20warp_exchange_kernelILj256ELj1ELj64E18ScatterToStripedOpnEvPT3_j,"axG",@progbits,_Z20warp_exchange_kernelILj256ELj1ELj64E18ScatterToStripedOpnEvPT3_j,comdat
.Lfunc_end125:
	.size	_Z20warp_exchange_kernelILj256ELj1ELj64E18ScatterToStripedOpnEvPT3_j, .Lfunc_end125-_Z20warp_exchange_kernelILj256ELj1ELj64E18ScatterToStripedOpnEvPT3_j
                                        ; -- End function
	.section	.AMDGPU.csdata,"",@progbits
; Kernel info:
; codeLenInByte = 172
; NumSgprs: 10
; NumVgprs: 8
; NumAgprs: 0
; TotalNumVgprs: 8
; ScratchSize: 0
; MemoryBound: 0
; FloatMode: 240
; IeeeMode: 1
; LDSByteSize: 4096 bytes/workgroup (compile time only)
; SGPRBlocks: 1
; VGPRBlocks: 0
; NumSGPRsForWavesPerEU: 10
; NumVGPRsForWavesPerEU: 8
; AccumOffset: 8
; Occupancy: 8
; WaveLimiterHint : 0
; COMPUTE_PGM_RSRC2:SCRATCH_EN: 0
; COMPUTE_PGM_RSRC2:USER_SGPR: 2
; COMPUTE_PGM_RSRC2:TRAP_HANDLER: 0
; COMPUTE_PGM_RSRC2:TGID_X_EN: 1
; COMPUTE_PGM_RSRC2:TGID_Y_EN: 0
; COMPUTE_PGM_RSRC2:TGID_Z_EN: 0
; COMPUTE_PGM_RSRC2:TIDIG_COMP_CNT: 0
; COMPUTE_PGM_RSRC3_GFX90A:ACCUM_OFFSET: 1
; COMPUTE_PGM_RSRC3_GFX90A:TG_SPLIT: 0
	.section	.text._Z20warp_exchange_kernelILj256ELj4ELj64E18ScatterToStripedOpnEvPT3_j,"axG",@progbits,_Z20warp_exchange_kernelILj256ELj4ELj64E18ScatterToStripedOpnEvPT3_j,comdat
	.protected	_Z20warp_exchange_kernelILj256ELj4ELj64E18ScatterToStripedOpnEvPT3_j ; -- Begin function _Z20warp_exchange_kernelILj256ELj4ELj64E18ScatterToStripedOpnEvPT3_j
	.globl	_Z20warp_exchange_kernelILj256ELj4ELj64E18ScatterToStripedOpnEvPT3_j
	.p2align	8
	.type	_Z20warp_exchange_kernelILj256ELj4ELj64E18ScatterToStripedOpnEvPT3_j,@function
_Z20warp_exchange_kernelILj256ELj4ELj64E18ScatterToStripedOpnEvPT3_j: ; @_Z20warp_exchange_kernelILj256ELj4ELj64E18ScatterToStripedOpnEvPT3_j
; %bb.0:
	s_load_dword s3, s[0:1], 0x8
	v_lshlrev_b32_e32 v18, 2, v0
	v_or_b32_e32 v10, 1, v18
	v_or_b32_e32 v6, 2, v18
	;; [unrolled: 1-line block ×3, first 2 shown]
	s_waitcnt lgkmcnt(0)
	s_cmp_eq_u32 s3, 0
	s_cbranch_scc1 .LBB126_3
; %bb.1:
	v_and_b32_e32 v1, 0xfc, v18
	v_lshlrev_b32_e32 v0, 6, v0
	v_mov_b32_e32 v3, 0
	v_xor_b32_e32 v8, 0xfc, v1
	v_and_b32_e32 v9, 0x3000, v0
	v_mbcnt_lo_u32_b32 v12, -1, 0
	v_mov_b64_e32 v[4:5], 0
	v_mov_b32_e32 v19, v3
	v_lshl_or_b32 v0, v8, 4, v9
	v_mbcnt_hi_u32_b32 v8, -1, v12
	v_mov_b64_e32 v[16:17], 0
	v_mov_b32_e32 v7, v3
	v_mov_b32_e32 v11, v3
	v_lshl_or_b32 v1, v1, 4, v9
	v_lshl_or_b32 v20, v8, 4, v9
	v_mov_b64_e32 v[8:9], v[4:5]
	v_mov_b64_e32 v[12:13], v[4:5]
	;; [unrolled: 1-line block ×3, first 2 shown]
.LBB126_2:                              ; =>This Inner Loop Header: Depth=1
	s_waitcnt lgkmcnt(3)
	ds_write_b128 v0, v[14:17]
	s_waitcnt lgkmcnt(3)
	ds_write_b128 v1, v[10:13] offset:16
	s_waitcnt lgkmcnt(3)
	ds_write_b128 v0, v[6:9] offset:32
	;; [unrolled: 2-line block ×3, first 2 shown]
	; wave barrier
	ds_read_b128 v[14:17], v20
	ds_read_b128 v[10:13], v20 offset:1024
	ds_read_b128 v[6:9], v20 offset:2048
	;; [unrolled: 1-line block ×3, first 2 shown]
	s_add_i32 s3, s3, -1
	s_cmp_lg_u32 s3, 0
	; wave barrier
	s_cbranch_scc1 .LBB126_2
	s_branch .LBB126_4
.LBB126_3:
	v_mov_b32_e32 v19, 0
	v_mov_b64_e32 v[16:17], 0
	v_mov_b64_e32 v[4:5], 0
	v_mov_b32_e32 v11, v19
	v_mov_b32_e32 v7, v19
	;; [unrolled: 1-line block ×3, first 2 shown]
	v_mov_b64_e32 v[14:15], v[18:19]
	v_mov_b64_e32 v[12:13], v[16:17]
	v_mov_b64_e32 v[8:9], v[16:17]
.LBB126_4:
	s_load_dwordx2 s[0:1], s[0:1], 0x0
	v_lshl_or_b32 v0, s2, 10, v18
	v_mov_b32_e32 v1, 0
	s_waitcnt lgkmcnt(0)
	v_lshl_add_u64 v[0:1], v[0:1], 4, s[0:1]
	global_store_dwordx4 v[0:1], v[14:17], off
	global_store_dwordx4 v[0:1], v[10:13], off offset:16
	global_store_dwordx4 v[0:1], v[6:9], off offset:32
	;; [unrolled: 1-line block ×3, first 2 shown]
	s_endpgm
	.section	.rodata,"a",@progbits
	.p2align	6, 0x0
	.amdhsa_kernel _Z20warp_exchange_kernelILj256ELj4ELj64E18ScatterToStripedOpnEvPT3_j
		.amdhsa_group_segment_fixed_size 16384
		.amdhsa_private_segment_fixed_size 0
		.amdhsa_kernarg_size 12
		.amdhsa_user_sgpr_count 2
		.amdhsa_user_sgpr_dispatch_ptr 0
		.amdhsa_user_sgpr_queue_ptr 0
		.amdhsa_user_sgpr_kernarg_segment_ptr 1
		.amdhsa_user_sgpr_dispatch_id 0
		.amdhsa_user_sgpr_kernarg_preload_length 0
		.amdhsa_user_sgpr_kernarg_preload_offset 0
		.amdhsa_user_sgpr_private_segment_size 0
		.amdhsa_uses_dynamic_stack 0
		.amdhsa_enable_private_segment 0
		.amdhsa_system_sgpr_workgroup_id_x 1
		.amdhsa_system_sgpr_workgroup_id_y 0
		.amdhsa_system_sgpr_workgroup_id_z 0
		.amdhsa_system_sgpr_workgroup_info 0
		.amdhsa_system_vgpr_workitem_id 0
		.amdhsa_next_free_vgpr 21
		.amdhsa_next_free_sgpr 4
		.amdhsa_accum_offset 24
		.amdhsa_reserve_vcc 0
		.amdhsa_float_round_mode_32 0
		.amdhsa_float_round_mode_16_64 0
		.amdhsa_float_denorm_mode_32 3
		.amdhsa_float_denorm_mode_16_64 3
		.amdhsa_dx10_clamp 1
		.amdhsa_ieee_mode 1
		.amdhsa_fp16_overflow 0
		.amdhsa_tg_split 0
		.amdhsa_exception_fp_ieee_invalid_op 0
		.amdhsa_exception_fp_denorm_src 0
		.amdhsa_exception_fp_ieee_div_zero 0
		.amdhsa_exception_fp_ieee_overflow 0
		.amdhsa_exception_fp_ieee_underflow 0
		.amdhsa_exception_fp_ieee_inexact 0
		.amdhsa_exception_int_div_zero 0
	.end_amdhsa_kernel
	.section	.text._Z20warp_exchange_kernelILj256ELj4ELj64E18ScatterToStripedOpnEvPT3_j,"axG",@progbits,_Z20warp_exchange_kernelILj256ELj4ELj64E18ScatterToStripedOpnEvPT3_j,comdat
.Lfunc_end126:
	.size	_Z20warp_exchange_kernelILj256ELj4ELj64E18ScatterToStripedOpnEvPT3_j, .Lfunc_end126-_Z20warp_exchange_kernelILj256ELj4ELj64E18ScatterToStripedOpnEvPT3_j
                                        ; -- End function
	.section	.AMDGPU.csdata,"",@progbits
; Kernel info:
; codeLenInByte = 340
; NumSgprs: 10
; NumVgprs: 21
; NumAgprs: 0
; TotalNumVgprs: 21
; ScratchSize: 0
; MemoryBound: 0
; FloatMode: 240
; IeeeMode: 1
; LDSByteSize: 16384 bytes/workgroup (compile time only)
; SGPRBlocks: 1
; VGPRBlocks: 2
; NumSGPRsForWavesPerEU: 10
; NumVGPRsForWavesPerEU: 21
; AccumOffset: 24
; Occupancy: 4
; WaveLimiterHint : 0
; COMPUTE_PGM_RSRC2:SCRATCH_EN: 0
; COMPUTE_PGM_RSRC2:USER_SGPR: 2
; COMPUTE_PGM_RSRC2:TRAP_HANDLER: 0
; COMPUTE_PGM_RSRC2:TGID_X_EN: 1
; COMPUTE_PGM_RSRC2:TGID_Y_EN: 0
; COMPUTE_PGM_RSRC2:TGID_Z_EN: 0
; COMPUTE_PGM_RSRC2:TIDIG_COMP_CNT: 0
; COMPUTE_PGM_RSRC3_GFX90A:ACCUM_OFFSET: 5
; COMPUTE_PGM_RSRC3_GFX90A:TG_SPLIT: 0
	.section	.text._Z20warp_exchange_kernelILj256ELj16ELj64E18ScatterToStripedOpnEvPT3_j,"axG",@progbits,_Z20warp_exchange_kernelILj256ELj16ELj64E18ScatterToStripedOpnEvPT3_j,comdat
	.protected	_Z20warp_exchange_kernelILj256ELj16ELj64E18ScatterToStripedOpnEvPT3_j ; -- Begin function _Z20warp_exchange_kernelILj256ELj16ELj64E18ScatterToStripedOpnEvPT3_j
	.globl	_Z20warp_exchange_kernelILj256ELj16ELj64E18ScatterToStripedOpnEvPT3_j
	.p2align	8
	.type	_Z20warp_exchange_kernelILj256ELj16ELj64E18ScatterToStripedOpnEvPT3_j,@function
_Z20warp_exchange_kernelILj256ELj16ELj64E18ScatterToStripedOpnEvPT3_j: ; @_Z20warp_exchange_kernelILj256ELj16ELj64E18ScatterToStripedOpnEvPT3_j
; %bb.0:
	s_load_dword s3, s[0:1], 0x8
	v_lshlrev_b32_e32 v66, 4, v0
	v_or_b32_e32 v58, 1, v66
	v_or_b32_e32 v54, 2, v66
	;; [unrolled: 1-line block ×14, first 2 shown]
	s_waitcnt lgkmcnt(0)
	s_cmp_eq_u32 s3, 0
	v_or_b32_e32 v2, 15, v66
	s_cbranch_scc1 .LBB127_3
; %bb.1:
	v_lshlrev_b32_e32 v0, 8, v0
	v_mov_b32_e32 v3, 0
	v_and_b32_e32 v4, 0x3f0, v66
	v_and_b32_e32 v5, 0xc000, v0
	v_mbcnt_lo_u32_b32 v0, -1, 0
	v_mov_b64_e32 v[60:61], 0
	v_mov_b32_e32 v67, v3
	v_xor_b32_e32 v1, 0x3f0, v4
	v_mbcnt_hi_u32_b32 v0, -1, v0
	v_mov_b64_e32 v[64:65], 0
	v_mov_b32_e32 v7, v3
	v_mov_b32_e32 v11, v3
	;; [unrolled: 1-line block ×14, first 2 shown]
	v_lshl_or_b32 v0, v0, 4, v5
	v_lshl_or_b32 v1, v1, 4, v5
	;; [unrolled: 1-line block ×3, first 2 shown]
	v_mov_b64_e32 v[62:63], v[66:67]
	v_mov_b64_e32 v[56:57], v[60:61]
	;; [unrolled: 1-line block ×15, first 2 shown]
.LBB127_2:                              ; =>This Inner Loop Header: Depth=1
	s_waitcnt lgkmcnt(14)
	ds_write_b128 v1, v[62:65]
	ds_write_b128 v68, v[58:61] offset:16
	s_waitcnt lgkmcnt(14)
	ds_write_b128 v1, v[54:57] offset:32
	ds_write_b128 v68, v[50:53] offset:48
	s_waitcnt lgkmcnt(14)
	ds_write_b128 v1, v[46:49] offset:64
	;; [unrolled: 3-line block ×7, first 2 shown]
	ds_write_b128 v68, v[2:5] offset:240
	; wave barrier
	ds_read_b128 v[62:65], v0
	ds_read_b128 v[58:61], v0 offset:1024
	ds_read_b128 v[54:57], v0 offset:2048
	;; [unrolled: 1-line block ×15, first 2 shown]
	s_add_i32 s3, s3, -1
	s_cmp_lg_u32 s3, 0
	; wave barrier
	s_cbranch_scc1 .LBB127_2
	s_branch .LBB127_4
.LBB127_3:
	v_mov_b32_e32 v67, 0
	v_mov_b64_e32 v[8:9], 0
	v_mov_b64_e32 v[4:5], 0
	v_mov_b32_e32 v59, v67
	v_mov_b32_e32 v55, v67
	;; [unrolled: 1-line block ×15, first 2 shown]
	v_mov_b64_e32 v[12:13], v[8:9]
	v_mov_b64_e32 v[16:17], v[8:9]
	;; [unrolled: 1-line block ×15, first 2 shown]
.LBB127_4:
	s_load_dwordx2 s[0:1], s[0:1], 0x0
	v_lshl_or_b32 v0, s2, 12, v66
	v_mov_b32_e32 v1, 0
	s_waitcnt lgkmcnt(0)
	v_lshl_add_u64 v[0:1], v[0:1], 4, s[0:1]
	global_store_dwordx4 v[0:1], v[62:65], off
	global_store_dwordx4 v[0:1], v[58:61], off offset:16
	global_store_dwordx4 v[0:1], v[54:57], off offset:32
	;; [unrolled: 1-line block ×15, first 2 shown]
	s_endpgm
	.section	.rodata,"a",@progbits
	.p2align	6, 0x0
	.amdhsa_kernel _Z20warp_exchange_kernelILj256ELj16ELj64E18ScatterToStripedOpnEvPT3_j
		.amdhsa_group_segment_fixed_size 65536
		.amdhsa_private_segment_fixed_size 0
		.amdhsa_kernarg_size 12
		.amdhsa_user_sgpr_count 2
		.amdhsa_user_sgpr_dispatch_ptr 0
		.amdhsa_user_sgpr_queue_ptr 0
		.amdhsa_user_sgpr_kernarg_segment_ptr 1
		.amdhsa_user_sgpr_dispatch_id 0
		.amdhsa_user_sgpr_kernarg_preload_length 0
		.amdhsa_user_sgpr_kernarg_preload_offset 0
		.amdhsa_user_sgpr_private_segment_size 0
		.amdhsa_uses_dynamic_stack 0
		.amdhsa_enable_private_segment 0
		.amdhsa_system_sgpr_workgroup_id_x 1
		.amdhsa_system_sgpr_workgroup_id_y 0
		.amdhsa_system_sgpr_workgroup_id_z 0
		.amdhsa_system_sgpr_workgroup_info 0
		.amdhsa_system_vgpr_workitem_id 0
		.amdhsa_next_free_vgpr 69
		.amdhsa_next_free_sgpr 4
		.amdhsa_accum_offset 72
		.amdhsa_reserve_vcc 0
		.amdhsa_float_round_mode_32 0
		.amdhsa_float_round_mode_16_64 0
		.amdhsa_float_denorm_mode_32 3
		.amdhsa_float_denorm_mode_16_64 3
		.amdhsa_dx10_clamp 1
		.amdhsa_ieee_mode 1
		.amdhsa_fp16_overflow 0
		.amdhsa_tg_split 0
		.amdhsa_exception_fp_ieee_invalid_op 0
		.amdhsa_exception_fp_denorm_src 0
		.amdhsa_exception_fp_ieee_div_zero 0
		.amdhsa_exception_fp_ieee_overflow 0
		.amdhsa_exception_fp_ieee_underflow 0
		.amdhsa_exception_fp_ieee_inexact 0
		.amdhsa_exception_int_div_zero 0
	.end_amdhsa_kernel
	.section	.text._Z20warp_exchange_kernelILj256ELj16ELj64E18ScatterToStripedOpnEvPT3_j,"axG",@progbits,_Z20warp_exchange_kernelILj256ELj16ELj64E18ScatterToStripedOpnEvPT3_j,comdat
.Lfunc_end127:
	.size	_Z20warp_exchange_kernelILj256ELj16ELj64E18ScatterToStripedOpnEvPT3_j, .Lfunc_end127-_Z20warp_exchange_kernelILj256ELj16ELj64E18ScatterToStripedOpnEvPT3_j
                                        ; -- End function
	.section	.AMDGPU.csdata,"",@progbits
; Kernel info:
; codeLenInByte = 884
; NumSgprs: 10
; NumVgprs: 69
; NumAgprs: 0
; TotalNumVgprs: 69
; ScratchSize: 0
; MemoryBound: 1
; FloatMode: 240
; IeeeMode: 1
; LDSByteSize: 65536 bytes/workgroup (compile time only)
; SGPRBlocks: 1
; VGPRBlocks: 8
; NumSGPRsForWavesPerEU: 10
; NumVGPRsForWavesPerEU: 69
; AccumOffset: 72
; Occupancy: 1
; WaveLimiterHint : 1
; COMPUTE_PGM_RSRC2:SCRATCH_EN: 0
; COMPUTE_PGM_RSRC2:USER_SGPR: 2
; COMPUTE_PGM_RSRC2:TRAP_HANDLER: 0
; COMPUTE_PGM_RSRC2:TGID_X_EN: 1
; COMPUTE_PGM_RSRC2:TGID_Y_EN: 0
; COMPUTE_PGM_RSRC2:TGID_Z_EN: 0
; COMPUTE_PGM_RSRC2:TIDIG_COMP_CNT: 0
; COMPUTE_PGM_RSRC3_GFX90A:ACCUM_OFFSET: 17
; COMPUTE_PGM_RSRC3_GFX90A:TG_SPLIT: 0
	.section	.text._Z20warp_exchange_kernelILj256ELj1ELj64EN6common18BlockedToStripedOpEoEvPT3_j,"axG",@progbits,_Z20warp_exchange_kernelILj256ELj1ELj64EN6common18BlockedToStripedOpEoEvPT3_j,comdat
	.protected	_Z20warp_exchange_kernelILj256ELj1ELj64EN6common18BlockedToStripedOpEoEvPT3_j ; -- Begin function _Z20warp_exchange_kernelILj256ELj1ELj64EN6common18BlockedToStripedOpEoEvPT3_j
	.globl	_Z20warp_exchange_kernelILj256ELj1ELj64EN6common18BlockedToStripedOpEoEvPT3_j
	.p2align	8
	.type	_Z20warp_exchange_kernelILj256ELj1ELj64EN6common18BlockedToStripedOpEoEvPT3_j,@function
_Z20warp_exchange_kernelILj256ELj1ELj64EN6common18BlockedToStripedOpEoEvPT3_j: ; @_Z20warp_exchange_kernelILj256ELj1ELj64EN6common18BlockedToStripedOpEoEvPT3_j
; %bb.0:
	s_load_dword s3, s[0:1], 0x8
	v_mov_b32_e32 v1, 0
	v_mov_b64_e32 v[4:5], 0
	s_waitcnt lgkmcnt(0)
	s_cmp_eq_u32 s3, 0
	s_cbranch_scc1 .LBB128_3
; %bb.1:
	v_lshlrev_b32_e32 v2, 4, v0
	v_mbcnt_lo_u32_b32 v3, -1, 0
	v_and_b32_e32 v2, 0xc00, v2
	v_mbcnt_hi_u32_b32 v3, -1, v3
	v_lshl_add_u32 v6, v3, 4, v2
	v_mov_b64_e32 v[2:3], v[0:1]
.LBB128_2:                              ; =>This Inner Loop Header: Depth=1
	s_waitcnt lgkmcnt(0)
	ds_write_b128 v6, v[2:5]
	; wave barrier
	ds_read_b128 v[2:5], v6
	s_add_i32 s3, s3, -1
	s_cmp_lg_u32 s3, 0
	; wave barrier
	s_cbranch_scc1 .LBB128_2
	s_branch .LBB128_4
.LBB128_3:
	v_mov_b64_e32 v[2:3], v[0:1]
.LBB128_4:
	s_load_dwordx2 s[0:1], s[0:1], 0x0
	v_lshl_or_b32 v0, s2, 8, v0
	v_mov_b32_e32 v1, 0
	s_waitcnt lgkmcnt(0)
	v_lshl_add_u64 v[0:1], v[0:1], 4, s[0:1]
	global_store_dwordx4 v[0:1], v[2:5], off
	s_endpgm
	.section	.rodata,"a",@progbits
	.p2align	6, 0x0
	.amdhsa_kernel _Z20warp_exchange_kernelILj256ELj1ELj64EN6common18BlockedToStripedOpEoEvPT3_j
		.amdhsa_group_segment_fixed_size 4096
		.amdhsa_private_segment_fixed_size 0
		.amdhsa_kernarg_size 12
		.amdhsa_user_sgpr_count 2
		.amdhsa_user_sgpr_dispatch_ptr 0
		.amdhsa_user_sgpr_queue_ptr 0
		.amdhsa_user_sgpr_kernarg_segment_ptr 1
		.amdhsa_user_sgpr_dispatch_id 0
		.amdhsa_user_sgpr_kernarg_preload_length 0
		.amdhsa_user_sgpr_kernarg_preload_offset 0
		.amdhsa_user_sgpr_private_segment_size 0
		.amdhsa_uses_dynamic_stack 0
		.amdhsa_enable_private_segment 0
		.amdhsa_system_sgpr_workgroup_id_x 1
		.amdhsa_system_sgpr_workgroup_id_y 0
		.amdhsa_system_sgpr_workgroup_id_z 0
		.amdhsa_system_sgpr_workgroup_info 0
		.amdhsa_system_vgpr_workitem_id 0
		.amdhsa_next_free_vgpr 7
		.amdhsa_next_free_sgpr 4
		.amdhsa_accum_offset 8
		.amdhsa_reserve_vcc 0
		.amdhsa_float_round_mode_32 0
		.amdhsa_float_round_mode_16_64 0
		.amdhsa_float_denorm_mode_32 3
		.amdhsa_float_denorm_mode_16_64 3
		.amdhsa_dx10_clamp 1
		.amdhsa_ieee_mode 1
		.amdhsa_fp16_overflow 0
		.amdhsa_tg_split 0
		.amdhsa_exception_fp_ieee_invalid_op 0
		.amdhsa_exception_fp_denorm_src 0
		.amdhsa_exception_fp_ieee_div_zero 0
		.amdhsa_exception_fp_ieee_overflow 0
		.amdhsa_exception_fp_ieee_underflow 0
		.amdhsa_exception_fp_ieee_inexact 0
		.amdhsa_exception_int_div_zero 0
	.end_amdhsa_kernel
	.section	.text._Z20warp_exchange_kernelILj256ELj1ELj64EN6common18BlockedToStripedOpEoEvPT3_j,"axG",@progbits,_Z20warp_exchange_kernelILj256ELj1ELj64EN6common18BlockedToStripedOpEoEvPT3_j,comdat
.Lfunc_end128:
	.size	_Z20warp_exchange_kernelILj256ELj1ELj64EN6common18BlockedToStripedOpEoEvPT3_j, .Lfunc_end128-_Z20warp_exchange_kernelILj256ELj1ELj64EN6common18BlockedToStripedOpEoEvPT3_j
                                        ; -- End function
	.section	.AMDGPU.csdata,"",@progbits
; Kernel info:
; codeLenInByte = 152
; NumSgprs: 10
; NumVgprs: 7
; NumAgprs: 0
; TotalNumVgprs: 7
; ScratchSize: 0
; MemoryBound: 0
; FloatMode: 240
; IeeeMode: 1
; LDSByteSize: 4096 bytes/workgroup (compile time only)
; SGPRBlocks: 1
; VGPRBlocks: 0
; NumSGPRsForWavesPerEU: 10
; NumVGPRsForWavesPerEU: 7
; AccumOffset: 8
; Occupancy: 8
; WaveLimiterHint : 0
; COMPUTE_PGM_RSRC2:SCRATCH_EN: 0
; COMPUTE_PGM_RSRC2:USER_SGPR: 2
; COMPUTE_PGM_RSRC2:TRAP_HANDLER: 0
; COMPUTE_PGM_RSRC2:TGID_X_EN: 1
; COMPUTE_PGM_RSRC2:TGID_Y_EN: 0
; COMPUTE_PGM_RSRC2:TGID_Z_EN: 0
; COMPUTE_PGM_RSRC2:TIDIG_COMP_CNT: 0
; COMPUTE_PGM_RSRC3_GFX90A:ACCUM_OFFSET: 1
; COMPUTE_PGM_RSRC3_GFX90A:TG_SPLIT: 0
	.section	.text._Z20warp_exchange_kernelILj256ELj4ELj64EN6common18BlockedToStripedOpEoEvPT3_j,"axG",@progbits,_Z20warp_exchange_kernelILj256ELj4ELj64EN6common18BlockedToStripedOpEoEvPT3_j,comdat
	.protected	_Z20warp_exchange_kernelILj256ELj4ELj64EN6common18BlockedToStripedOpEoEvPT3_j ; -- Begin function _Z20warp_exchange_kernelILj256ELj4ELj64EN6common18BlockedToStripedOpEoEvPT3_j
	.globl	_Z20warp_exchange_kernelILj256ELj4ELj64EN6common18BlockedToStripedOpEoEvPT3_j
	.p2align	8
	.type	_Z20warp_exchange_kernelILj256ELj4ELj64EN6common18BlockedToStripedOpEoEvPT3_j,@function
_Z20warp_exchange_kernelILj256ELj4ELj64EN6common18BlockedToStripedOpEoEvPT3_j: ; @_Z20warp_exchange_kernelILj256ELj4ELj64EN6common18BlockedToStripedOpEoEvPT3_j
; %bb.0:
	s_load_dword s3, s[0:1], 0x8
	v_lshlrev_b32_e32 v18, 2, v0
	v_or_b32_e32 v10, 1, v18
	v_or_b32_e32 v6, 2, v18
	;; [unrolled: 1-line block ×3, first 2 shown]
	s_waitcnt lgkmcnt(0)
	s_cmp_eq_u32 s3, 0
	s_cbranch_scc1 .LBB129_3
; %bb.1:
	v_lshlrev_b32_e32 v0, 6, v0
	v_mov_b32_e32 v3, 0
	v_and_b32_e32 v1, 0x3000, v0
	v_mbcnt_lo_u32_b32 v0, -1, 0
	v_mov_b64_e32 v[4:5], 0
	v_mov_b32_e32 v19, v3
	v_mbcnt_hi_u32_b32 v8, -1, v0
	v_mov_b64_e32 v[16:17], 0
	v_mov_b32_e32 v7, v3
	v_mov_b32_e32 v11, v3
	v_lshl_add_u32 v0, v8, 6, v1
	v_lshl_or_b32 v1, v8, 4, v1
	v_mov_b64_e32 v[8:9], v[4:5]
	v_mov_b64_e32 v[12:13], v[4:5]
	;; [unrolled: 1-line block ×3, first 2 shown]
.LBB129_2:                              ; =>This Inner Loop Header: Depth=1
	s_waitcnt lgkmcnt(3)
	ds_write_b128 v0, v[14:17]
	s_waitcnt lgkmcnt(3)
	ds_write_b128 v0, v[10:13] offset:16
	s_waitcnt lgkmcnt(3)
	ds_write_b128 v0, v[6:9] offset:32
	;; [unrolled: 2-line block ×3, first 2 shown]
	; wave barrier
	ds_read_b128 v[14:17], v1
	ds_read_b128 v[10:13], v1 offset:1024
	ds_read_b128 v[6:9], v1 offset:2048
	;; [unrolled: 1-line block ×3, first 2 shown]
	s_add_i32 s3, s3, -1
	s_cmp_lg_u32 s3, 0
	; wave barrier
	s_cbranch_scc1 .LBB129_2
	s_branch .LBB129_4
.LBB129_3:
	v_mov_b32_e32 v19, 0
	v_mov_b64_e32 v[16:17], 0
	v_mov_b64_e32 v[4:5], 0
	v_mov_b32_e32 v11, v19
	v_mov_b32_e32 v7, v19
	;; [unrolled: 1-line block ×3, first 2 shown]
	v_mov_b64_e32 v[14:15], v[18:19]
	v_mov_b64_e32 v[12:13], v[16:17]
	v_mov_b64_e32 v[8:9], v[16:17]
.LBB129_4:
	s_load_dwordx2 s[0:1], s[0:1], 0x0
	v_lshl_or_b32 v0, s2, 10, v18
	v_mov_b32_e32 v1, 0
	s_waitcnt lgkmcnt(0)
	v_lshl_add_u64 v[0:1], v[0:1], 4, s[0:1]
	global_store_dwordx4 v[0:1], v[14:17], off
	global_store_dwordx4 v[0:1], v[10:13], off offset:16
	global_store_dwordx4 v[0:1], v[6:9], off offset:32
	;; [unrolled: 1-line block ×3, first 2 shown]
	s_endpgm
	.section	.rodata,"a",@progbits
	.p2align	6, 0x0
	.amdhsa_kernel _Z20warp_exchange_kernelILj256ELj4ELj64EN6common18BlockedToStripedOpEoEvPT3_j
		.amdhsa_group_segment_fixed_size 16384
		.amdhsa_private_segment_fixed_size 0
		.amdhsa_kernarg_size 12
		.amdhsa_user_sgpr_count 2
		.amdhsa_user_sgpr_dispatch_ptr 0
		.amdhsa_user_sgpr_queue_ptr 0
		.amdhsa_user_sgpr_kernarg_segment_ptr 1
		.amdhsa_user_sgpr_dispatch_id 0
		.amdhsa_user_sgpr_kernarg_preload_length 0
		.amdhsa_user_sgpr_kernarg_preload_offset 0
		.amdhsa_user_sgpr_private_segment_size 0
		.amdhsa_uses_dynamic_stack 0
		.amdhsa_enable_private_segment 0
		.amdhsa_system_sgpr_workgroup_id_x 1
		.amdhsa_system_sgpr_workgroup_id_y 0
		.amdhsa_system_sgpr_workgroup_id_z 0
		.amdhsa_system_sgpr_workgroup_info 0
		.amdhsa_system_vgpr_workitem_id 0
		.amdhsa_next_free_vgpr 20
		.amdhsa_next_free_sgpr 4
		.amdhsa_accum_offset 20
		.amdhsa_reserve_vcc 0
		.amdhsa_float_round_mode_32 0
		.amdhsa_float_round_mode_16_64 0
		.amdhsa_float_denorm_mode_32 3
		.amdhsa_float_denorm_mode_16_64 3
		.amdhsa_dx10_clamp 1
		.amdhsa_ieee_mode 1
		.amdhsa_fp16_overflow 0
		.amdhsa_tg_split 0
		.amdhsa_exception_fp_ieee_invalid_op 0
		.amdhsa_exception_fp_denorm_src 0
		.amdhsa_exception_fp_ieee_div_zero 0
		.amdhsa_exception_fp_ieee_overflow 0
		.amdhsa_exception_fp_ieee_underflow 0
		.amdhsa_exception_fp_ieee_inexact 0
		.amdhsa_exception_int_div_zero 0
	.end_amdhsa_kernel
	.section	.text._Z20warp_exchange_kernelILj256ELj4ELj64EN6common18BlockedToStripedOpEoEvPT3_j,"axG",@progbits,_Z20warp_exchange_kernelILj256ELj4ELj64EN6common18BlockedToStripedOpEoEvPT3_j,comdat
.Lfunc_end129:
	.size	_Z20warp_exchange_kernelILj256ELj4ELj64EN6common18BlockedToStripedOpEoEvPT3_j, .Lfunc_end129-_Z20warp_exchange_kernelILj256ELj4ELj64EN6common18BlockedToStripedOpEoEvPT3_j
                                        ; -- End function
	.section	.AMDGPU.csdata,"",@progbits
; Kernel info:
; codeLenInByte = 316
; NumSgprs: 10
; NumVgprs: 20
; NumAgprs: 0
; TotalNumVgprs: 20
; ScratchSize: 0
; MemoryBound: 0
; FloatMode: 240
; IeeeMode: 1
; LDSByteSize: 16384 bytes/workgroup (compile time only)
; SGPRBlocks: 1
; VGPRBlocks: 2
; NumSGPRsForWavesPerEU: 10
; NumVGPRsForWavesPerEU: 20
; AccumOffset: 20
; Occupancy: 4
; WaveLimiterHint : 0
; COMPUTE_PGM_RSRC2:SCRATCH_EN: 0
; COMPUTE_PGM_RSRC2:USER_SGPR: 2
; COMPUTE_PGM_RSRC2:TRAP_HANDLER: 0
; COMPUTE_PGM_RSRC2:TGID_X_EN: 1
; COMPUTE_PGM_RSRC2:TGID_Y_EN: 0
; COMPUTE_PGM_RSRC2:TGID_Z_EN: 0
; COMPUTE_PGM_RSRC2:TIDIG_COMP_CNT: 0
; COMPUTE_PGM_RSRC3_GFX90A:ACCUM_OFFSET: 4
; COMPUTE_PGM_RSRC3_GFX90A:TG_SPLIT: 0
	.section	.text._Z20warp_exchange_kernelILj256ELj16ELj64EN6common18BlockedToStripedOpEoEvPT3_j,"axG",@progbits,_Z20warp_exchange_kernelILj256ELj16ELj64EN6common18BlockedToStripedOpEoEvPT3_j,comdat
	.protected	_Z20warp_exchange_kernelILj256ELj16ELj64EN6common18BlockedToStripedOpEoEvPT3_j ; -- Begin function _Z20warp_exchange_kernelILj256ELj16ELj64EN6common18BlockedToStripedOpEoEvPT3_j
	.globl	_Z20warp_exchange_kernelILj256ELj16ELj64EN6common18BlockedToStripedOpEoEvPT3_j
	.p2align	8
	.type	_Z20warp_exchange_kernelILj256ELj16ELj64EN6common18BlockedToStripedOpEoEvPT3_j,@function
_Z20warp_exchange_kernelILj256ELj16ELj64EN6common18BlockedToStripedOpEoEvPT3_j: ; @_Z20warp_exchange_kernelILj256ELj16ELj64EN6common18BlockedToStripedOpEoEvPT3_j
; %bb.0:
	s_load_dword s3, s[0:1], 0x8
	v_lshlrev_b32_e32 v66, 4, v0
	v_or_b32_e32 v58, 1, v66
	v_or_b32_e32 v54, 2, v66
	;; [unrolled: 1-line block ×14, first 2 shown]
	s_waitcnt lgkmcnt(0)
	s_cmp_eq_u32 s3, 0
	v_or_b32_e32 v2, 15, v66
	s_cbranch_scc1 .LBB130_3
; %bb.1:
	v_lshlrev_b32_e32 v0, 8, v0
	v_mov_b32_e32 v3, 0
	v_and_b32_e32 v1, 0xc000, v0
	v_mbcnt_lo_u32_b32 v0, -1, 0
	v_mov_b64_e32 v[4:5], 0
	v_mov_b32_e32 v67, v3
	v_mbcnt_hi_u32_b32 v8, -1, v0
	v_mov_b64_e32 v[64:65], 0
	v_mov_b32_e32 v7, v3
	v_mov_b32_e32 v11, v3
	v_mov_b32_e32 v15, v3
	v_mov_b32_e32 v19, v3
	v_mov_b32_e32 v23, v3
	v_mov_b32_e32 v27, v3
	v_mov_b32_e32 v31, v3
	v_mov_b32_e32 v35, v3
	v_mov_b32_e32 v39, v3
	v_mov_b32_e32 v43, v3
	v_mov_b32_e32 v47, v3
	v_mov_b32_e32 v51, v3
	v_mov_b32_e32 v55, v3
	v_mov_b32_e32 v59, v3
	v_lshl_add_u32 v0, v8, 8, v1
	v_lshl_or_b32 v1, v8, 4, v1
	v_mov_b64_e32 v[8:9], v[4:5]
	v_mov_b64_e32 v[12:13], v[4:5]
	;; [unrolled: 1-line block ×15, first 2 shown]
.LBB130_2:                              ; =>This Inner Loop Header: Depth=1
	s_waitcnt lgkmcnt(14)
	ds_write_b128 v0, v[62:65]
	ds_write_b128 v0, v[58:61] offset:16
	s_waitcnt lgkmcnt(14)
	ds_write_b128 v0, v[54:57] offset:32
	ds_write_b128 v0, v[50:53] offset:48
	s_waitcnt lgkmcnt(14)
	ds_write_b128 v0, v[46:49] offset:64
	;; [unrolled: 3-line block ×7, first 2 shown]
	ds_write_b128 v0, v[2:5] offset:240
	; wave barrier
	ds_read_b128 v[62:65], v1
	ds_read_b128 v[58:61], v1 offset:1024
	ds_read_b128 v[54:57], v1 offset:2048
	;; [unrolled: 1-line block ×15, first 2 shown]
	s_add_i32 s3, s3, -1
	s_cmp_lg_u32 s3, 0
	; wave barrier
	s_cbranch_scc1 .LBB130_2
	s_branch .LBB130_4
.LBB130_3:
	v_mov_b32_e32 v67, 0
	v_mov_b64_e32 v[64:65], 0
	v_mov_b64_e32 v[4:5], 0
	v_mov_b32_e32 v59, v67
	v_mov_b32_e32 v55, v67
	;; [unrolled: 1-line block ×15, first 2 shown]
	v_mov_b64_e32 v[62:63], v[66:67]
	v_mov_b64_e32 v[60:61], v[64:65]
	;; [unrolled: 1-line block ×15, first 2 shown]
.LBB130_4:
	s_load_dwordx2 s[0:1], s[0:1], 0x0
	v_lshl_or_b32 v0, s2, 12, v66
	v_mov_b32_e32 v1, 0
	s_waitcnt lgkmcnt(0)
	v_lshl_add_u64 v[0:1], v[0:1], 4, s[0:1]
	global_store_dwordx4 v[0:1], v[62:65], off
	global_store_dwordx4 v[0:1], v[58:61], off offset:16
	global_store_dwordx4 v[0:1], v[54:57], off offset:32
	;; [unrolled: 1-line block ×15, first 2 shown]
	s_endpgm
	.section	.rodata,"a",@progbits
	.p2align	6, 0x0
	.amdhsa_kernel _Z20warp_exchange_kernelILj256ELj16ELj64EN6common18BlockedToStripedOpEoEvPT3_j
		.amdhsa_group_segment_fixed_size 65536
		.amdhsa_private_segment_fixed_size 0
		.amdhsa_kernarg_size 12
		.amdhsa_user_sgpr_count 2
		.amdhsa_user_sgpr_dispatch_ptr 0
		.amdhsa_user_sgpr_queue_ptr 0
		.amdhsa_user_sgpr_kernarg_segment_ptr 1
		.amdhsa_user_sgpr_dispatch_id 0
		.amdhsa_user_sgpr_kernarg_preload_length 0
		.amdhsa_user_sgpr_kernarg_preload_offset 0
		.amdhsa_user_sgpr_private_segment_size 0
		.amdhsa_uses_dynamic_stack 0
		.amdhsa_enable_private_segment 0
		.amdhsa_system_sgpr_workgroup_id_x 1
		.amdhsa_system_sgpr_workgroup_id_y 0
		.amdhsa_system_sgpr_workgroup_id_z 0
		.amdhsa_system_sgpr_workgroup_info 0
		.amdhsa_system_vgpr_workitem_id 0
		.amdhsa_next_free_vgpr 68
		.amdhsa_next_free_sgpr 4
		.amdhsa_accum_offset 68
		.amdhsa_reserve_vcc 0
		.amdhsa_float_round_mode_32 0
		.amdhsa_float_round_mode_16_64 0
		.amdhsa_float_denorm_mode_32 3
		.amdhsa_float_denorm_mode_16_64 3
		.amdhsa_dx10_clamp 1
		.amdhsa_ieee_mode 1
		.amdhsa_fp16_overflow 0
		.amdhsa_tg_split 0
		.amdhsa_exception_fp_ieee_invalid_op 0
		.amdhsa_exception_fp_denorm_src 0
		.amdhsa_exception_fp_ieee_div_zero 0
		.amdhsa_exception_fp_ieee_overflow 0
		.amdhsa_exception_fp_ieee_underflow 0
		.amdhsa_exception_fp_ieee_inexact 0
		.amdhsa_exception_int_div_zero 0
	.end_amdhsa_kernel
	.section	.text._Z20warp_exchange_kernelILj256ELj16ELj64EN6common18BlockedToStripedOpEoEvPT3_j,"axG",@progbits,_Z20warp_exchange_kernelILj256ELj16ELj64EN6common18BlockedToStripedOpEoEvPT3_j,comdat
.Lfunc_end130:
	.size	_Z20warp_exchange_kernelILj256ELj16ELj64EN6common18BlockedToStripedOpEoEvPT3_j, .Lfunc_end130-_Z20warp_exchange_kernelILj256ELj16ELj64EN6common18BlockedToStripedOpEoEvPT3_j
                                        ; -- End function
	.section	.AMDGPU.csdata,"",@progbits
; Kernel info:
; codeLenInByte = 860
; NumSgprs: 10
; NumVgprs: 68
; NumAgprs: 0
; TotalNumVgprs: 68
; ScratchSize: 0
; MemoryBound: 1
; FloatMode: 240
; IeeeMode: 1
; LDSByteSize: 65536 bytes/workgroup (compile time only)
; SGPRBlocks: 1
; VGPRBlocks: 8
; NumSGPRsForWavesPerEU: 10
; NumVGPRsForWavesPerEU: 68
; AccumOffset: 68
; Occupancy: 1
; WaveLimiterHint : 1
; COMPUTE_PGM_RSRC2:SCRATCH_EN: 0
; COMPUTE_PGM_RSRC2:USER_SGPR: 2
; COMPUTE_PGM_RSRC2:TRAP_HANDLER: 0
; COMPUTE_PGM_RSRC2:TGID_X_EN: 1
; COMPUTE_PGM_RSRC2:TGID_Y_EN: 0
; COMPUTE_PGM_RSRC2:TGID_Z_EN: 0
; COMPUTE_PGM_RSRC2:TIDIG_COMP_CNT: 0
; COMPUTE_PGM_RSRC3_GFX90A:ACCUM_OFFSET: 16
; COMPUTE_PGM_RSRC3_GFX90A:TG_SPLIT: 0
	.section	.text._Z20warp_exchange_kernelILj256ELj1ELj64EN6common18StripedToBlockedOpEoEvPT3_j,"axG",@progbits,_Z20warp_exchange_kernelILj256ELj1ELj64EN6common18StripedToBlockedOpEoEvPT3_j,comdat
	.protected	_Z20warp_exchange_kernelILj256ELj1ELj64EN6common18StripedToBlockedOpEoEvPT3_j ; -- Begin function _Z20warp_exchange_kernelILj256ELj1ELj64EN6common18StripedToBlockedOpEoEvPT3_j
	.globl	_Z20warp_exchange_kernelILj256ELj1ELj64EN6common18StripedToBlockedOpEoEvPT3_j
	.p2align	8
	.type	_Z20warp_exchange_kernelILj256ELj1ELj64EN6common18StripedToBlockedOpEoEvPT3_j,@function
_Z20warp_exchange_kernelILj256ELj1ELj64EN6common18StripedToBlockedOpEoEvPT3_j: ; @_Z20warp_exchange_kernelILj256ELj1ELj64EN6common18StripedToBlockedOpEoEvPT3_j
; %bb.0:
	s_load_dword s3, s[0:1], 0x8
	v_mov_b32_e32 v1, 0
	v_mov_b64_e32 v[4:5], 0
	s_waitcnt lgkmcnt(0)
	s_cmp_eq_u32 s3, 0
	s_cbranch_scc1 .LBB131_3
; %bb.1:
	v_lshlrev_b32_e32 v2, 4, v0
	v_mbcnt_lo_u32_b32 v3, -1, 0
	v_and_b32_e32 v2, 0xc00, v2
	v_mbcnt_hi_u32_b32 v3, -1, v3
	v_lshl_add_u32 v6, v3, 4, v2
	v_mov_b64_e32 v[2:3], v[0:1]
.LBB131_2:                              ; =>This Inner Loop Header: Depth=1
	s_waitcnt lgkmcnt(0)
	ds_write_b128 v6, v[2:5]
	; wave barrier
	ds_read_b128 v[2:5], v6
	s_add_i32 s3, s3, -1
	s_cmp_lg_u32 s3, 0
	; wave barrier
	s_cbranch_scc1 .LBB131_2
	s_branch .LBB131_4
.LBB131_3:
	v_mov_b64_e32 v[2:3], v[0:1]
.LBB131_4:
	s_load_dwordx2 s[0:1], s[0:1], 0x0
	v_lshl_or_b32 v0, s2, 8, v0
	v_mov_b32_e32 v1, 0
	s_waitcnt lgkmcnt(0)
	v_lshl_add_u64 v[0:1], v[0:1], 4, s[0:1]
	global_store_dwordx4 v[0:1], v[2:5], off
	s_endpgm
	.section	.rodata,"a",@progbits
	.p2align	6, 0x0
	.amdhsa_kernel _Z20warp_exchange_kernelILj256ELj1ELj64EN6common18StripedToBlockedOpEoEvPT3_j
		.amdhsa_group_segment_fixed_size 4096
		.amdhsa_private_segment_fixed_size 0
		.amdhsa_kernarg_size 12
		.amdhsa_user_sgpr_count 2
		.amdhsa_user_sgpr_dispatch_ptr 0
		.amdhsa_user_sgpr_queue_ptr 0
		.amdhsa_user_sgpr_kernarg_segment_ptr 1
		.amdhsa_user_sgpr_dispatch_id 0
		.amdhsa_user_sgpr_kernarg_preload_length 0
		.amdhsa_user_sgpr_kernarg_preload_offset 0
		.amdhsa_user_sgpr_private_segment_size 0
		.amdhsa_uses_dynamic_stack 0
		.amdhsa_enable_private_segment 0
		.amdhsa_system_sgpr_workgroup_id_x 1
		.amdhsa_system_sgpr_workgroup_id_y 0
		.amdhsa_system_sgpr_workgroup_id_z 0
		.amdhsa_system_sgpr_workgroup_info 0
		.amdhsa_system_vgpr_workitem_id 0
		.amdhsa_next_free_vgpr 7
		.amdhsa_next_free_sgpr 4
		.amdhsa_accum_offset 8
		.amdhsa_reserve_vcc 0
		.amdhsa_float_round_mode_32 0
		.amdhsa_float_round_mode_16_64 0
		.amdhsa_float_denorm_mode_32 3
		.amdhsa_float_denorm_mode_16_64 3
		.amdhsa_dx10_clamp 1
		.amdhsa_ieee_mode 1
		.amdhsa_fp16_overflow 0
		.amdhsa_tg_split 0
		.amdhsa_exception_fp_ieee_invalid_op 0
		.amdhsa_exception_fp_denorm_src 0
		.amdhsa_exception_fp_ieee_div_zero 0
		.amdhsa_exception_fp_ieee_overflow 0
		.amdhsa_exception_fp_ieee_underflow 0
		.amdhsa_exception_fp_ieee_inexact 0
		.amdhsa_exception_int_div_zero 0
	.end_amdhsa_kernel
	.section	.text._Z20warp_exchange_kernelILj256ELj1ELj64EN6common18StripedToBlockedOpEoEvPT3_j,"axG",@progbits,_Z20warp_exchange_kernelILj256ELj1ELj64EN6common18StripedToBlockedOpEoEvPT3_j,comdat
.Lfunc_end131:
	.size	_Z20warp_exchange_kernelILj256ELj1ELj64EN6common18StripedToBlockedOpEoEvPT3_j, .Lfunc_end131-_Z20warp_exchange_kernelILj256ELj1ELj64EN6common18StripedToBlockedOpEoEvPT3_j
                                        ; -- End function
	.section	.AMDGPU.csdata,"",@progbits
; Kernel info:
; codeLenInByte = 152
; NumSgprs: 10
; NumVgprs: 7
; NumAgprs: 0
; TotalNumVgprs: 7
; ScratchSize: 0
; MemoryBound: 0
; FloatMode: 240
; IeeeMode: 1
; LDSByteSize: 4096 bytes/workgroup (compile time only)
; SGPRBlocks: 1
; VGPRBlocks: 0
; NumSGPRsForWavesPerEU: 10
; NumVGPRsForWavesPerEU: 7
; AccumOffset: 8
; Occupancy: 8
; WaveLimiterHint : 0
; COMPUTE_PGM_RSRC2:SCRATCH_EN: 0
; COMPUTE_PGM_RSRC2:USER_SGPR: 2
; COMPUTE_PGM_RSRC2:TRAP_HANDLER: 0
; COMPUTE_PGM_RSRC2:TGID_X_EN: 1
; COMPUTE_PGM_RSRC2:TGID_Y_EN: 0
; COMPUTE_PGM_RSRC2:TGID_Z_EN: 0
; COMPUTE_PGM_RSRC2:TIDIG_COMP_CNT: 0
; COMPUTE_PGM_RSRC3_GFX90A:ACCUM_OFFSET: 1
; COMPUTE_PGM_RSRC3_GFX90A:TG_SPLIT: 0
	.section	.text._Z20warp_exchange_kernelILj256ELj4ELj64EN6common18StripedToBlockedOpEoEvPT3_j,"axG",@progbits,_Z20warp_exchange_kernelILj256ELj4ELj64EN6common18StripedToBlockedOpEoEvPT3_j,comdat
	.protected	_Z20warp_exchange_kernelILj256ELj4ELj64EN6common18StripedToBlockedOpEoEvPT3_j ; -- Begin function _Z20warp_exchange_kernelILj256ELj4ELj64EN6common18StripedToBlockedOpEoEvPT3_j
	.globl	_Z20warp_exchange_kernelILj256ELj4ELj64EN6common18StripedToBlockedOpEoEvPT3_j
	.p2align	8
	.type	_Z20warp_exchange_kernelILj256ELj4ELj64EN6common18StripedToBlockedOpEoEvPT3_j,@function
_Z20warp_exchange_kernelILj256ELj4ELj64EN6common18StripedToBlockedOpEoEvPT3_j: ; @_Z20warp_exchange_kernelILj256ELj4ELj64EN6common18StripedToBlockedOpEoEvPT3_j
; %bb.0:
	s_load_dword s3, s[0:1], 0x8
	v_lshlrev_b32_e32 v18, 2, v0
	v_or_b32_e32 v10, 1, v18
	v_or_b32_e32 v6, 2, v18
	;; [unrolled: 1-line block ×3, first 2 shown]
	s_waitcnt lgkmcnt(0)
	s_cmp_eq_u32 s3, 0
	s_cbranch_scc1 .LBB132_3
; %bb.1:
	v_lshlrev_b32_e32 v0, 6, v0
	v_mov_b32_e32 v3, 0
	v_and_b32_e32 v1, 0x3000, v0
	v_mbcnt_lo_u32_b32 v0, -1, 0
	v_mov_b64_e32 v[4:5], 0
	v_mov_b32_e32 v19, v3
	v_mbcnt_hi_u32_b32 v8, -1, v0
	v_mov_b64_e32 v[16:17], 0
	v_mov_b32_e32 v7, v3
	v_mov_b32_e32 v11, v3
	v_lshl_or_b32 v0, v8, 4, v1
	v_lshl_add_u32 v1, v8, 6, v1
	v_mov_b64_e32 v[8:9], v[4:5]
	v_mov_b64_e32 v[12:13], v[4:5]
	;; [unrolled: 1-line block ×3, first 2 shown]
.LBB132_2:                              ; =>This Inner Loop Header: Depth=1
	s_waitcnt lgkmcnt(3)
	ds_write_b128 v0, v[14:17]
	s_waitcnt lgkmcnt(3)
	ds_write_b128 v0, v[10:13] offset:1024
	s_waitcnt lgkmcnt(3)
	ds_write_b128 v0, v[6:9] offset:2048
	;; [unrolled: 2-line block ×3, first 2 shown]
	; wave barrier
	ds_read_b128 v[14:17], v1
	ds_read_b128 v[10:13], v1 offset:16
	ds_read_b128 v[6:9], v1 offset:32
	ds_read_b128 v[2:5], v1 offset:48
	s_add_i32 s3, s3, -1
	s_cmp_lg_u32 s3, 0
	; wave barrier
	s_cbranch_scc1 .LBB132_2
	s_branch .LBB132_4
.LBB132_3:
	v_mov_b32_e32 v19, 0
	v_mov_b64_e32 v[16:17], 0
	v_mov_b64_e32 v[4:5], 0
	v_mov_b32_e32 v11, v19
	v_mov_b32_e32 v7, v19
	v_mov_b32_e32 v3, v19
	v_mov_b64_e32 v[14:15], v[18:19]
	v_mov_b64_e32 v[12:13], v[16:17]
	;; [unrolled: 1-line block ×3, first 2 shown]
.LBB132_4:
	s_load_dwordx2 s[0:1], s[0:1], 0x0
	v_lshl_or_b32 v0, s2, 10, v18
	v_mov_b32_e32 v1, 0
	s_waitcnt lgkmcnt(0)
	v_lshl_add_u64 v[0:1], v[0:1], 4, s[0:1]
	global_store_dwordx4 v[0:1], v[14:17], off
	global_store_dwordx4 v[0:1], v[10:13], off offset:16
	global_store_dwordx4 v[0:1], v[6:9], off offset:32
	;; [unrolled: 1-line block ×3, first 2 shown]
	s_endpgm
	.section	.rodata,"a",@progbits
	.p2align	6, 0x0
	.amdhsa_kernel _Z20warp_exchange_kernelILj256ELj4ELj64EN6common18StripedToBlockedOpEoEvPT3_j
		.amdhsa_group_segment_fixed_size 16384
		.amdhsa_private_segment_fixed_size 0
		.amdhsa_kernarg_size 12
		.amdhsa_user_sgpr_count 2
		.amdhsa_user_sgpr_dispatch_ptr 0
		.amdhsa_user_sgpr_queue_ptr 0
		.amdhsa_user_sgpr_kernarg_segment_ptr 1
		.amdhsa_user_sgpr_dispatch_id 0
		.amdhsa_user_sgpr_kernarg_preload_length 0
		.amdhsa_user_sgpr_kernarg_preload_offset 0
		.amdhsa_user_sgpr_private_segment_size 0
		.amdhsa_uses_dynamic_stack 0
		.amdhsa_enable_private_segment 0
		.amdhsa_system_sgpr_workgroup_id_x 1
		.amdhsa_system_sgpr_workgroup_id_y 0
		.amdhsa_system_sgpr_workgroup_id_z 0
		.amdhsa_system_sgpr_workgroup_info 0
		.amdhsa_system_vgpr_workitem_id 0
		.amdhsa_next_free_vgpr 20
		.amdhsa_next_free_sgpr 4
		.amdhsa_accum_offset 20
		.amdhsa_reserve_vcc 0
		.amdhsa_float_round_mode_32 0
		.amdhsa_float_round_mode_16_64 0
		.amdhsa_float_denorm_mode_32 3
		.amdhsa_float_denorm_mode_16_64 3
		.amdhsa_dx10_clamp 1
		.amdhsa_ieee_mode 1
		.amdhsa_fp16_overflow 0
		.amdhsa_tg_split 0
		.amdhsa_exception_fp_ieee_invalid_op 0
		.amdhsa_exception_fp_denorm_src 0
		.amdhsa_exception_fp_ieee_div_zero 0
		.amdhsa_exception_fp_ieee_overflow 0
		.amdhsa_exception_fp_ieee_underflow 0
		.amdhsa_exception_fp_ieee_inexact 0
		.amdhsa_exception_int_div_zero 0
	.end_amdhsa_kernel
	.section	.text._Z20warp_exchange_kernelILj256ELj4ELj64EN6common18StripedToBlockedOpEoEvPT3_j,"axG",@progbits,_Z20warp_exchange_kernelILj256ELj4ELj64EN6common18StripedToBlockedOpEoEvPT3_j,comdat
.Lfunc_end132:
	.size	_Z20warp_exchange_kernelILj256ELj4ELj64EN6common18StripedToBlockedOpEoEvPT3_j, .Lfunc_end132-_Z20warp_exchange_kernelILj256ELj4ELj64EN6common18StripedToBlockedOpEoEvPT3_j
                                        ; -- End function
	.section	.AMDGPU.csdata,"",@progbits
; Kernel info:
; codeLenInByte = 316
; NumSgprs: 10
; NumVgprs: 20
; NumAgprs: 0
; TotalNumVgprs: 20
; ScratchSize: 0
; MemoryBound: 0
; FloatMode: 240
; IeeeMode: 1
; LDSByteSize: 16384 bytes/workgroup (compile time only)
; SGPRBlocks: 1
; VGPRBlocks: 2
; NumSGPRsForWavesPerEU: 10
; NumVGPRsForWavesPerEU: 20
; AccumOffset: 20
; Occupancy: 4
; WaveLimiterHint : 0
; COMPUTE_PGM_RSRC2:SCRATCH_EN: 0
; COMPUTE_PGM_RSRC2:USER_SGPR: 2
; COMPUTE_PGM_RSRC2:TRAP_HANDLER: 0
; COMPUTE_PGM_RSRC2:TGID_X_EN: 1
; COMPUTE_PGM_RSRC2:TGID_Y_EN: 0
; COMPUTE_PGM_RSRC2:TGID_Z_EN: 0
; COMPUTE_PGM_RSRC2:TIDIG_COMP_CNT: 0
; COMPUTE_PGM_RSRC3_GFX90A:ACCUM_OFFSET: 4
; COMPUTE_PGM_RSRC3_GFX90A:TG_SPLIT: 0
	.section	.text._Z20warp_exchange_kernelILj256ELj16ELj64EN6common18StripedToBlockedOpEoEvPT3_j,"axG",@progbits,_Z20warp_exchange_kernelILj256ELj16ELj64EN6common18StripedToBlockedOpEoEvPT3_j,comdat
	.protected	_Z20warp_exchange_kernelILj256ELj16ELj64EN6common18StripedToBlockedOpEoEvPT3_j ; -- Begin function _Z20warp_exchange_kernelILj256ELj16ELj64EN6common18StripedToBlockedOpEoEvPT3_j
	.globl	_Z20warp_exchange_kernelILj256ELj16ELj64EN6common18StripedToBlockedOpEoEvPT3_j
	.p2align	8
	.type	_Z20warp_exchange_kernelILj256ELj16ELj64EN6common18StripedToBlockedOpEoEvPT3_j,@function
_Z20warp_exchange_kernelILj256ELj16ELj64EN6common18StripedToBlockedOpEoEvPT3_j: ; @_Z20warp_exchange_kernelILj256ELj16ELj64EN6common18StripedToBlockedOpEoEvPT3_j
; %bb.0:
	s_load_dword s3, s[0:1], 0x8
	v_lshlrev_b32_e32 v66, 4, v0
	v_or_b32_e32 v58, 1, v66
	v_or_b32_e32 v46, 2, v66
	v_or_b32_e32 v34, 3, v66
	v_or_b32_e32 v54, 4, v66
	v_or_b32_e32 v50, 5, v66
	v_or_b32_e32 v42, 6, v66
	v_or_b32_e32 v38, 7, v66
	v_or_b32_e32 v30, 8, v66
	v_or_b32_e32 v26, 9, v66
	v_or_b32_e32 v22, 10, v66
	v_or_b32_e32 v18, 11, v66
	v_or_b32_e32 v14, 12, v66
	v_or_b32_e32 v10, 13, v66
	v_or_b32_e32 v6, 14, v66
	s_waitcnt lgkmcnt(0)
	s_cmp_eq_u32 s3, 0
	v_or_b32_e32 v2, 15, v66
	s_cbranch_scc1 .LBB133_3
; %bb.1:
	v_lshlrev_b32_e32 v0, 8, v0
	v_mov_b32_e32 v3, 0
	v_and_b32_e32 v1, 0xc000, v0
	v_mbcnt_lo_u32_b32 v0, -1, 0
	v_mov_b64_e32 v[4:5], 0
	v_mov_b32_e32 v67, v3
	v_mbcnt_hi_u32_b32 v8, -1, v0
	v_mov_b64_e32 v[64:65], 0
	v_mov_b32_e32 v7, v3
	v_mov_b32_e32 v11, v3
	;; [unrolled: 1-line block ×14, first 2 shown]
	v_lshl_or_b32 v0, v8, 4, v1
	v_lshl_add_u32 v1, v8, 8, v1
	v_mov_b64_e32 v[8:9], v[4:5]
	v_mov_b64_e32 v[12:13], v[4:5]
	;; [unrolled: 1-line block ×15, first 2 shown]
.LBB133_2:                              ; =>This Inner Loop Header: Depth=1
	s_waitcnt lgkmcnt(14)
	ds_write_b128 v0, v[62:65]
	ds_write_b128 v0, v[58:61] offset:1024
	s_waitcnt lgkmcnt(14)
	ds_write_b128 v0, v[46:49] offset:2048
	ds_write_b128 v0, v[34:37] offset:3072
	s_waitcnt lgkmcnt(14)
	ds_write_b128 v0, v[54:57] offset:4096
	;; [unrolled: 3-line block ×7, first 2 shown]
	ds_write_b128 v0, v[2:5] offset:15360
	; wave barrier
	ds_read_b128 v[62:65], v1
	ds_read_b128 v[58:61], v1 offset:16
	ds_read_b128 v[46:49], v1 offset:32
	;; [unrolled: 1-line block ×15, first 2 shown]
	s_add_i32 s3, s3, -1
	s_cmp_lg_u32 s3, 0
	; wave barrier
	s_cbranch_scc1 .LBB133_2
	s_branch .LBB133_4
.LBB133_3:
	v_mov_b32_e32 v67, 0
	v_mov_b64_e32 v[64:65], 0
	v_mov_b64_e32 v[4:5], 0
	v_mov_b32_e32 v59, v67
	v_mov_b32_e32 v47, v67
	;; [unrolled: 1-line block ×15, first 2 shown]
	v_mov_b64_e32 v[62:63], v[66:67]
	v_mov_b64_e32 v[60:61], v[64:65]
	v_mov_b64_e32 v[48:49], v[64:65]
	v_mov_b64_e32 v[36:37], v[64:65]
	v_mov_b64_e32 v[56:57], v[64:65]
	v_mov_b64_e32 v[52:53], v[64:65]
	v_mov_b64_e32 v[44:45], v[64:65]
	v_mov_b64_e32 v[40:41], v[64:65]
	v_mov_b64_e32 v[32:33], v[64:65]
	v_mov_b64_e32 v[28:29], v[64:65]
	v_mov_b64_e32 v[24:25], v[64:65]
	v_mov_b64_e32 v[20:21], v[64:65]
	v_mov_b64_e32 v[16:17], v[64:65]
	v_mov_b64_e32 v[12:13], v[64:65]
	v_mov_b64_e32 v[8:9], v[64:65]
.LBB133_4:
	s_load_dwordx2 s[0:1], s[0:1], 0x0
	v_lshl_or_b32 v0, s2, 12, v66
	v_mov_b32_e32 v1, 0
	s_waitcnt lgkmcnt(0)
	v_lshl_add_u64 v[0:1], v[0:1], 4, s[0:1]
	global_store_dwordx4 v[0:1], v[62:65], off
	global_store_dwordx4 v[0:1], v[58:61], off offset:16
	global_store_dwordx4 v[0:1], v[46:49], off offset:32
	global_store_dwordx4 v[0:1], v[34:37], off offset:48
	global_store_dwordx4 v[0:1], v[54:57], off offset:64
	global_store_dwordx4 v[0:1], v[50:53], off offset:80
	global_store_dwordx4 v[0:1], v[42:45], off offset:96
	global_store_dwordx4 v[0:1], v[38:41], off offset:112
	global_store_dwordx4 v[0:1], v[30:33], off offset:128
	global_store_dwordx4 v[0:1], v[26:29], off offset:144
	global_store_dwordx4 v[0:1], v[22:25], off offset:160
	global_store_dwordx4 v[0:1], v[18:21], off offset:176
	global_store_dwordx4 v[0:1], v[14:17], off offset:192
	global_store_dwordx4 v[0:1], v[10:13], off offset:208
	global_store_dwordx4 v[0:1], v[6:9], off offset:224
	global_store_dwordx4 v[0:1], v[2:5], off offset:240
	s_endpgm
	.section	.rodata,"a",@progbits
	.p2align	6, 0x0
	.amdhsa_kernel _Z20warp_exchange_kernelILj256ELj16ELj64EN6common18StripedToBlockedOpEoEvPT3_j
		.amdhsa_group_segment_fixed_size 65536
		.amdhsa_private_segment_fixed_size 0
		.amdhsa_kernarg_size 12
		.amdhsa_user_sgpr_count 2
		.amdhsa_user_sgpr_dispatch_ptr 0
		.amdhsa_user_sgpr_queue_ptr 0
		.amdhsa_user_sgpr_kernarg_segment_ptr 1
		.amdhsa_user_sgpr_dispatch_id 0
		.amdhsa_user_sgpr_kernarg_preload_length 0
		.amdhsa_user_sgpr_kernarg_preload_offset 0
		.amdhsa_user_sgpr_private_segment_size 0
		.amdhsa_uses_dynamic_stack 0
		.amdhsa_enable_private_segment 0
		.amdhsa_system_sgpr_workgroup_id_x 1
		.amdhsa_system_sgpr_workgroup_id_y 0
		.amdhsa_system_sgpr_workgroup_id_z 0
		.amdhsa_system_sgpr_workgroup_info 0
		.amdhsa_system_vgpr_workitem_id 0
		.amdhsa_next_free_vgpr 68
		.amdhsa_next_free_sgpr 4
		.amdhsa_accum_offset 68
		.amdhsa_reserve_vcc 0
		.amdhsa_float_round_mode_32 0
		.amdhsa_float_round_mode_16_64 0
		.amdhsa_float_denorm_mode_32 3
		.amdhsa_float_denorm_mode_16_64 3
		.amdhsa_dx10_clamp 1
		.amdhsa_ieee_mode 1
		.amdhsa_fp16_overflow 0
		.amdhsa_tg_split 0
		.amdhsa_exception_fp_ieee_invalid_op 0
		.amdhsa_exception_fp_denorm_src 0
		.amdhsa_exception_fp_ieee_div_zero 0
		.amdhsa_exception_fp_ieee_overflow 0
		.amdhsa_exception_fp_ieee_underflow 0
		.amdhsa_exception_fp_ieee_inexact 0
		.amdhsa_exception_int_div_zero 0
	.end_amdhsa_kernel
	.section	.text._Z20warp_exchange_kernelILj256ELj16ELj64EN6common18StripedToBlockedOpEoEvPT3_j,"axG",@progbits,_Z20warp_exchange_kernelILj256ELj16ELj64EN6common18StripedToBlockedOpEoEvPT3_j,comdat
.Lfunc_end133:
	.size	_Z20warp_exchange_kernelILj256ELj16ELj64EN6common18StripedToBlockedOpEoEvPT3_j, .Lfunc_end133-_Z20warp_exchange_kernelILj256ELj16ELj64EN6common18StripedToBlockedOpEoEvPT3_j
                                        ; -- End function
	.section	.AMDGPU.csdata,"",@progbits
; Kernel info:
; codeLenInByte = 860
; NumSgprs: 10
; NumVgprs: 68
; NumAgprs: 0
; TotalNumVgprs: 68
; ScratchSize: 0
; MemoryBound: 1
; FloatMode: 240
; IeeeMode: 1
; LDSByteSize: 65536 bytes/workgroup (compile time only)
; SGPRBlocks: 1
; VGPRBlocks: 8
; NumSGPRsForWavesPerEU: 10
; NumVGPRsForWavesPerEU: 68
; AccumOffset: 68
; Occupancy: 1
; WaveLimiterHint : 1
; COMPUTE_PGM_RSRC2:SCRATCH_EN: 0
; COMPUTE_PGM_RSRC2:USER_SGPR: 2
; COMPUTE_PGM_RSRC2:TRAP_HANDLER: 0
; COMPUTE_PGM_RSRC2:TGID_X_EN: 1
; COMPUTE_PGM_RSRC2:TGID_Y_EN: 0
; COMPUTE_PGM_RSRC2:TGID_Z_EN: 0
; COMPUTE_PGM_RSRC2:TIDIG_COMP_CNT: 0
; COMPUTE_PGM_RSRC3_GFX90A:ACCUM_OFFSET: 16
; COMPUTE_PGM_RSRC3_GFX90A:TG_SPLIT: 0
	.section	.text._Z20warp_exchange_kernelILj256ELj1ELj64EN6common25BlockedToStripedShuffleOpEoEvPT3_j,"axG",@progbits,_Z20warp_exchange_kernelILj256ELj1ELj64EN6common25BlockedToStripedShuffleOpEoEvPT3_j,comdat
	.protected	_Z20warp_exchange_kernelILj256ELj1ELj64EN6common25BlockedToStripedShuffleOpEoEvPT3_j ; -- Begin function _Z20warp_exchange_kernelILj256ELj1ELj64EN6common25BlockedToStripedShuffleOpEoEvPT3_j
	.globl	_Z20warp_exchange_kernelILj256ELj1ELj64EN6common25BlockedToStripedShuffleOpEoEvPT3_j
	.p2align	8
	.type	_Z20warp_exchange_kernelILj256ELj1ELj64EN6common25BlockedToStripedShuffleOpEoEvPT3_j,@function
_Z20warp_exchange_kernelILj256ELj1ELj64EN6common25BlockedToStripedShuffleOpEoEvPT3_j: ; @_Z20warp_exchange_kernelILj256ELj1ELj64EN6common25BlockedToStripedShuffleOpEoEvPT3_j
; %bb.0:
	s_load_dword s3, s[0:1], 0x8
	v_mov_b32_e32 v5, 0
	s_waitcnt lgkmcnt(0)
	s_cmp_eq_u32 s3, 0
	s_cbranch_scc1 .LBB134_3
; %bb.1:
	v_mbcnt_lo_u32_b32 v1, -1, 0
	v_mbcnt_hi_u32_b32 v1, -1, v1
	v_lshlrev_b32_e32 v1, 2, v1
	v_mov_b32_e32 v2, v0
	v_mov_b32_e32 v3, 0
	;; [unrolled: 1-line block ×3, first 2 shown]
.LBB134_2:                              ; =>This Inner Loop Header: Depth=1
	s_waitcnt lgkmcnt(3)
	ds_bpermute_b32 v2, v1, v2
	s_waitcnt lgkmcnt(3)
	ds_bpermute_b32 v3, v1, v3
	;; [unrolled: 2-line block ×4, first 2 shown]
	s_add_i32 s3, s3, -1
	s_cmp_lg_u32 s3, 0
	; wave barrier
	s_cbranch_scc1 .LBB134_2
	s_branch .LBB134_4
.LBB134_3:
	v_mov_b32_e32 v2, v0
	v_mov_b32_e32 v3, 0
	;; [unrolled: 1-line block ×3, first 2 shown]
.LBB134_4:
	s_load_dwordx2 s[0:1], s[0:1], 0x0
	v_lshl_or_b32 v0, s2, 8, v0
	v_mov_b32_e32 v1, 0
	s_waitcnt lgkmcnt(0)
	v_lshl_add_u64 v[0:1], v[0:1], 4, s[0:1]
	global_store_dwordx4 v[0:1], v[2:5], off
	s_endpgm
	.section	.rodata,"a",@progbits
	.p2align	6, 0x0
	.amdhsa_kernel _Z20warp_exchange_kernelILj256ELj1ELj64EN6common25BlockedToStripedShuffleOpEoEvPT3_j
		.amdhsa_group_segment_fixed_size 0
		.amdhsa_private_segment_fixed_size 0
		.amdhsa_kernarg_size 12
		.amdhsa_user_sgpr_count 2
		.amdhsa_user_sgpr_dispatch_ptr 0
		.amdhsa_user_sgpr_queue_ptr 0
		.amdhsa_user_sgpr_kernarg_segment_ptr 1
		.amdhsa_user_sgpr_dispatch_id 0
		.amdhsa_user_sgpr_kernarg_preload_length 0
		.amdhsa_user_sgpr_kernarg_preload_offset 0
		.amdhsa_user_sgpr_private_segment_size 0
		.amdhsa_uses_dynamic_stack 0
		.amdhsa_enable_private_segment 0
		.amdhsa_system_sgpr_workgroup_id_x 1
		.amdhsa_system_sgpr_workgroup_id_y 0
		.amdhsa_system_sgpr_workgroup_id_z 0
		.amdhsa_system_sgpr_workgroup_info 0
		.amdhsa_system_vgpr_workitem_id 0
		.amdhsa_next_free_vgpr 6
		.amdhsa_next_free_sgpr 4
		.amdhsa_accum_offset 8
		.amdhsa_reserve_vcc 0
		.amdhsa_float_round_mode_32 0
		.amdhsa_float_round_mode_16_64 0
		.amdhsa_float_denorm_mode_32 3
		.amdhsa_float_denorm_mode_16_64 3
		.amdhsa_dx10_clamp 1
		.amdhsa_ieee_mode 1
		.amdhsa_fp16_overflow 0
		.amdhsa_tg_split 0
		.amdhsa_exception_fp_ieee_invalid_op 0
		.amdhsa_exception_fp_denorm_src 0
		.amdhsa_exception_fp_ieee_div_zero 0
		.amdhsa_exception_fp_ieee_overflow 0
		.amdhsa_exception_fp_ieee_underflow 0
		.amdhsa_exception_fp_ieee_inexact 0
		.amdhsa_exception_int_div_zero 0
	.end_amdhsa_kernel
	.section	.text._Z20warp_exchange_kernelILj256ELj1ELj64EN6common25BlockedToStripedShuffleOpEoEvPT3_j,"axG",@progbits,_Z20warp_exchange_kernelILj256ELj1ELj64EN6common25BlockedToStripedShuffleOpEoEvPT3_j,comdat
.Lfunc_end134:
	.size	_Z20warp_exchange_kernelILj256ELj1ELj64EN6common25BlockedToStripedShuffleOpEoEvPT3_j, .Lfunc_end134-_Z20warp_exchange_kernelILj256ELj1ELj64EN6common25BlockedToStripedShuffleOpEoEvPT3_j
                                        ; -- End function
	.section	.AMDGPU.csdata,"",@progbits
; Kernel info:
; codeLenInByte = 176
; NumSgprs: 10
; NumVgprs: 6
; NumAgprs: 0
; TotalNumVgprs: 6
; ScratchSize: 0
; MemoryBound: 0
; FloatMode: 240
; IeeeMode: 1
; LDSByteSize: 0 bytes/workgroup (compile time only)
; SGPRBlocks: 1
; VGPRBlocks: 0
; NumSGPRsForWavesPerEU: 10
; NumVGPRsForWavesPerEU: 6
; AccumOffset: 8
; Occupancy: 8
; WaveLimiterHint : 0
; COMPUTE_PGM_RSRC2:SCRATCH_EN: 0
; COMPUTE_PGM_RSRC2:USER_SGPR: 2
; COMPUTE_PGM_RSRC2:TRAP_HANDLER: 0
; COMPUTE_PGM_RSRC2:TGID_X_EN: 1
; COMPUTE_PGM_RSRC2:TGID_Y_EN: 0
; COMPUTE_PGM_RSRC2:TGID_Z_EN: 0
; COMPUTE_PGM_RSRC2:TIDIG_COMP_CNT: 0
; COMPUTE_PGM_RSRC3_GFX90A:ACCUM_OFFSET: 1
; COMPUTE_PGM_RSRC3_GFX90A:TG_SPLIT: 0
	.section	.text._Z20warp_exchange_kernelILj256ELj4ELj64EN6common25BlockedToStripedShuffleOpEoEvPT3_j,"axG",@progbits,_Z20warp_exchange_kernelILj256ELj4ELj64EN6common25BlockedToStripedShuffleOpEoEvPT3_j,comdat
	.protected	_Z20warp_exchange_kernelILj256ELj4ELj64EN6common25BlockedToStripedShuffleOpEoEvPT3_j ; -- Begin function _Z20warp_exchange_kernelILj256ELj4ELj64EN6common25BlockedToStripedShuffleOpEoEvPT3_j
	.globl	_Z20warp_exchange_kernelILj256ELj4ELj64EN6common25BlockedToStripedShuffleOpEoEvPT3_j
	.p2align	8
	.type	_Z20warp_exchange_kernelILj256ELj4ELj64EN6common25BlockedToStripedShuffleOpEoEvPT3_j,@function
_Z20warp_exchange_kernelILj256ELj4ELj64EN6common25BlockedToStripedShuffleOpEoEvPT3_j: ; @_Z20warp_exchange_kernelILj256ELj4ELj64EN6common25BlockedToStripedShuffleOpEoEvPT3_j
; %bb.0:
	s_load_dword s3, s[0:1], 0x8
	v_lshlrev_b32_e32 v16, 2, v0
	v_mov_b32_e32 v17, 0
	v_or_b32_e32 v22, 1, v16
	v_or_b32_e32 v20, 2, v16
	s_waitcnt lgkmcnt(0)
	s_cmp_eq_u32 s3, 0
	v_or_b32_e32 v18, 3, v16
	s_cbranch_scc1 .LBB135_27
; %bb.1:
	v_mbcnt_lo_u32_b32 v0, -1, 0
	v_mbcnt_hi_u32_b32 v0, -1, v0
	v_lshrrev_b32_e32 v1, 2, v0
	v_and_b32_e32 v2, 64, v0
	v_and_b32_e32 v0, 3, v0
	v_or_b32_e32 v3, v1, v2
	v_cmp_eq_u32_e32 vcc, 0, v0
	v_cmp_eq_u32_e64 s[8:9], 1, v0
	v_cmp_eq_u32_e64 s[4:5], 2, v0
	;; [unrolled: 1-line block ×3, first 2 shown]
	v_add_u32_e32 v0, 48, v1
	v_lshlrev_b32_e32 v26, 2, v3
	v_and_or_b32 v0, v0, 63, v2
	v_add_u32_e32 v27, 64, v26
	v_or_b32_e32 v28, 0x80, v26
	v_lshlrev_b32_e32 v29, 2, v0
	v_mov_b32_e32 v30, 0
	v_mov_b32_e32 v31, 0
	;; [unrolled: 1-line block ×12, first 2 shown]
	s_branch .LBB135_3
.LBB135_2:                              ;   in Loop: Header=BB135_3 Depth=1
	s_or_b64 exec, exec, s[10:11]
	s_add_i32 s3, s3, -1
	s_cmp_lg_u32 s3, 0
	s_waitcnt lgkmcnt(3)
	v_mov_b32_e32 v18, v12
	v_mov_b32_e32 v17, v13
	v_mov_b32_e32 v30, v14
	v_mov_b32_e32 v31, v15
	s_waitcnt lgkmcnt(1)
	v_mov_b32_e32 v20, v8
	v_mov_b32_e32 v19, v9
	;; [unrolled: 1-line block ×5, first 2 shown]
	s_waitcnt lgkmcnt(0)
	v_mov_b32_e32 v21, v5
	v_mov_b32_e32 v24, v6
	;; [unrolled: 1-line block ×7, first 2 shown]
	; wave barrier
	s_cbranch_scc0 .LBB135_28
.LBB135_3:                              ; =>This Inner Loop Header: Depth=1
	ds_bpermute_b32 v0, v26, v23
	ds_bpermute_b32 v1, v26, v34
	;; [unrolled: 1-line block ×4, first 2 shown]
	s_and_saveexec_b64 s[10:11], vcc
	s_or_b64 exec, exec, s[10:11]
	ds_bpermute_b32 v4, v26, v22
	ds_bpermute_b32 v5, v26, v21
	;; [unrolled: 1-line block ×4, first 2 shown]
	s_and_saveexec_b64 s[10:11], s[8:9]
	s_cbranch_execz .LBB135_5
; %bb.4:                                ;   in Loop: Header=BB135_3 Depth=1
	s_waitcnt lgkmcnt(2)
	v_mov_b64_e32 v[0:1], v[4:5]
	s_waitcnt lgkmcnt(0)
	v_mov_b64_e32 v[2:3], v[6:7]
.LBB135_5:                              ;   in Loop: Header=BB135_3 Depth=1
	s_or_b64 exec, exec, s[10:11]
	s_waitcnt lgkmcnt(3)
	ds_bpermute_b32 v4, v26, v20
	s_waitcnt lgkmcnt(3)
	ds_bpermute_b32 v5, v26, v19
	s_waitcnt lgkmcnt(3)
	ds_bpermute_b32 v6, v26, v32
	s_waitcnt lgkmcnt(3)
	ds_bpermute_b32 v7, v26, v33
	s_and_saveexec_b64 s[10:11], s[4:5]
	s_cbranch_execz .LBB135_7
; %bb.6:                                ;   in Loop: Header=BB135_3 Depth=1
	s_waitcnt lgkmcnt(2)
	v_mov_b64_e32 v[0:1], v[4:5]
	s_waitcnt lgkmcnt(0)
	v_mov_b64_e32 v[2:3], v[6:7]
.LBB135_7:                              ;   in Loop: Header=BB135_3 Depth=1
	s_or_b64 exec, exec, s[10:11]
	s_waitcnt lgkmcnt(3)
	ds_bpermute_b32 v4, v26, v18
	s_waitcnt lgkmcnt(3)
	ds_bpermute_b32 v5, v26, v17
	s_waitcnt lgkmcnt(3)
	ds_bpermute_b32 v6, v26, v30
	s_waitcnt lgkmcnt(3)
	ds_bpermute_b32 v7, v26, v31
	;; [unrolled: 17-line block ×3, first 2 shown]
	s_and_saveexec_b64 s[10:11], vcc
	s_or_b64 exec, exec, s[10:11]
	ds_bpermute_b32 v8, v27, v22
	ds_bpermute_b32 v9, v27, v21
	;; [unrolled: 1-line block ×4, first 2 shown]
	s_and_saveexec_b64 s[10:11], s[8:9]
	s_cbranch_execz .LBB135_11
; %bb.10:                               ;   in Loop: Header=BB135_3 Depth=1
	s_waitcnt lgkmcnt(2)
	v_mov_b64_e32 v[4:5], v[8:9]
	s_waitcnt lgkmcnt(0)
	v_mov_b64_e32 v[6:7], v[10:11]
.LBB135_11:                             ;   in Loop: Header=BB135_3 Depth=1
	s_or_b64 exec, exec, s[10:11]
	s_waitcnt lgkmcnt(3)
	ds_bpermute_b32 v8, v27, v20
	s_waitcnt lgkmcnt(3)
	ds_bpermute_b32 v9, v27, v19
	s_waitcnt lgkmcnt(3)
	ds_bpermute_b32 v10, v27, v32
	s_waitcnt lgkmcnt(3)
	ds_bpermute_b32 v11, v27, v33
	s_and_saveexec_b64 s[10:11], s[4:5]
	s_cbranch_execz .LBB135_13
; %bb.12:                               ;   in Loop: Header=BB135_3 Depth=1
	s_waitcnt lgkmcnt(2)
	v_mov_b64_e32 v[4:5], v[8:9]
	s_waitcnt lgkmcnt(0)
	v_mov_b64_e32 v[6:7], v[10:11]
.LBB135_13:                             ;   in Loop: Header=BB135_3 Depth=1
	s_or_b64 exec, exec, s[10:11]
	s_waitcnt lgkmcnt(3)
	ds_bpermute_b32 v8, v27, v18
	s_waitcnt lgkmcnt(3)
	ds_bpermute_b32 v9, v27, v17
	s_waitcnt lgkmcnt(3)
	ds_bpermute_b32 v10, v27, v30
	s_waitcnt lgkmcnt(3)
	ds_bpermute_b32 v11, v27, v31
	;; [unrolled: 17-line block ×3, first 2 shown]
	s_and_saveexec_b64 s[10:11], vcc
	s_or_b64 exec, exec, s[10:11]
	ds_bpermute_b32 v12, v28, v22
	ds_bpermute_b32 v13, v28, v21
	;; [unrolled: 1-line block ×4, first 2 shown]
	s_and_saveexec_b64 s[10:11], s[8:9]
	s_cbranch_execz .LBB135_17
; %bb.16:                               ;   in Loop: Header=BB135_3 Depth=1
	s_waitcnt lgkmcnt(2)
	v_mov_b64_e32 v[8:9], v[12:13]
	s_waitcnt lgkmcnt(0)
	v_mov_b64_e32 v[10:11], v[14:15]
.LBB135_17:                             ;   in Loop: Header=BB135_3 Depth=1
	s_or_b64 exec, exec, s[10:11]
	s_waitcnt lgkmcnt(3)
	ds_bpermute_b32 v12, v28, v20
	s_waitcnt lgkmcnt(3)
	ds_bpermute_b32 v13, v28, v19
	s_waitcnt lgkmcnt(3)
	ds_bpermute_b32 v14, v28, v32
	s_waitcnt lgkmcnt(3)
	ds_bpermute_b32 v15, v28, v33
	s_and_saveexec_b64 s[10:11], s[4:5]
	s_cbranch_execz .LBB135_19
; %bb.18:                               ;   in Loop: Header=BB135_3 Depth=1
	s_waitcnt lgkmcnt(2)
	v_mov_b64_e32 v[8:9], v[12:13]
	s_waitcnt lgkmcnt(0)
	v_mov_b64_e32 v[10:11], v[14:15]
.LBB135_19:                             ;   in Loop: Header=BB135_3 Depth=1
	s_or_b64 exec, exec, s[10:11]
	s_waitcnt lgkmcnt(3)
	ds_bpermute_b32 v12, v28, v18
	s_waitcnt lgkmcnt(3)
	ds_bpermute_b32 v13, v28, v17
	s_waitcnt lgkmcnt(3)
	ds_bpermute_b32 v14, v28, v30
	s_waitcnt lgkmcnt(3)
	ds_bpermute_b32 v15, v28, v31
	;; [unrolled: 17-line block ×3, first 2 shown]
	s_and_saveexec_b64 s[10:11], vcc
	s_or_b64 exec, exec, s[10:11]
	ds_bpermute_b32 v22, v29, v22
	ds_bpermute_b32 v23, v29, v21
	;; [unrolled: 1-line block ×4, first 2 shown]
	s_and_saveexec_b64 s[10:11], s[8:9]
	s_cbranch_execz .LBB135_23
; %bb.22:                               ;   in Loop: Header=BB135_3 Depth=1
	s_waitcnt lgkmcnt(2)
	v_mov_b64_e32 v[12:13], v[22:23]
	s_waitcnt lgkmcnt(0)
	v_mov_b64_e32 v[14:15], v[24:25]
.LBB135_23:                             ;   in Loop: Header=BB135_3 Depth=1
	s_or_b64 exec, exec, s[10:11]
	ds_bpermute_b32 v20, v29, v20
	ds_bpermute_b32 v21, v29, v19
	s_waitcnt lgkmcnt(5)
	ds_bpermute_b32 v22, v29, v32
	s_waitcnt lgkmcnt(5)
	ds_bpermute_b32 v23, v29, v33
	s_and_saveexec_b64 s[10:11], s[4:5]
	s_cbranch_execz .LBB135_25
; %bb.24:                               ;   in Loop: Header=BB135_3 Depth=1
	s_waitcnt lgkmcnt(2)
	v_mov_b64_e32 v[12:13], v[20:21]
	s_waitcnt lgkmcnt(0)
	v_mov_b64_e32 v[14:15], v[22:23]
.LBB135_25:                             ;   in Loop: Header=BB135_3 Depth=1
	s_or_b64 exec, exec, s[10:11]
	ds_bpermute_b32 v18, v29, v18
	ds_bpermute_b32 v19, v29, v17
	s_waitcnt lgkmcnt(5)
	ds_bpermute_b32 v20, v29, v30
	s_waitcnt lgkmcnt(5)
	ds_bpermute_b32 v21, v29, v31
	s_and_saveexec_b64 s[10:11], s[6:7]
	s_cbranch_execz .LBB135_2
; %bb.26:                               ;   in Loop: Header=BB135_3 Depth=1
	s_waitcnt lgkmcnt(2)
	v_mov_b64_e32 v[12:13], v[18:19]
	s_waitcnt lgkmcnt(0)
	v_mov_b64_e32 v[14:15], v[20:21]
	s_branch .LBB135_2
.LBB135_27:
	v_mov_b64_e32 v[2:3], 0
	v_mov_b32_e32 v23, v17
	v_mov_b32_e32 v21, v17
	;; [unrolled: 1-line block ×3, first 2 shown]
	v_mov_b64_e32 v[14:15], 0
	v_mov_b64_e32 v[0:1], v[16:17]
	;; [unrolled: 1-line block ×7, first 2 shown]
.LBB135_28:
	s_load_dwordx2 s[0:1], s[0:1], 0x0
	v_lshl_or_b32 v16, s2, 10, v16
	v_mov_b32_e32 v17, 0
	s_waitcnt lgkmcnt(0)
	v_lshl_add_u64 v[16:17], v[16:17], 4, s[0:1]
	global_store_dwordx4 v[16:17], v[0:3], off
	global_store_dwordx4 v[16:17], v[4:7], off offset:16
	global_store_dwordx4 v[16:17], v[8:11], off offset:32
	;; [unrolled: 1-line block ×3, first 2 shown]
	s_endpgm
	.section	.rodata,"a",@progbits
	.p2align	6, 0x0
	.amdhsa_kernel _Z20warp_exchange_kernelILj256ELj4ELj64EN6common25BlockedToStripedShuffleOpEoEvPT3_j
		.amdhsa_group_segment_fixed_size 0
		.amdhsa_private_segment_fixed_size 0
		.amdhsa_kernarg_size 12
		.amdhsa_user_sgpr_count 2
		.amdhsa_user_sgpr_dispatch_ptr 0
		.amdhsa_user_sgpr_queue_ptr 0
		.amdhsa_user_sgpr_kernarg_segment_ptr 1
		.amdhsa_user_sgpr_dispatch_id 0
		.amdhsa_user_sgpr_kernarg_preload_length 0
		.amdhsa_user_sgpr_kernarg_preload_offset 0
		.amdhsa_user_sgpr_private_segment_size 0
		.amdhsa_uses_dynamic_stack 0
		.amdhsa_enable_private_segment 0
		.amdhsa_system_sgpr_workgroup_id_x 1
		.amdhsa_system_sgpr_workgroup_id_y 0
		.amdhsa_system_sgpr_workgroup_id_z 0
		.amdhsa_system_sgpr_workgroup_info 0
		.amdhsa_system_vgpr_workitem_id 0
		.amdhsa_next_free_vgpr 37
		.amdhsa_next_free_sgpr 12
		.amdhsa_accum_offset 40
		.amdhsa_reserve_vcc 1
		.amdhsa_float_round_mode_32 0
		.amdhsa_float_round_mode_16_64 0
		.amdhsa_float_denorm_mode_32 3
		.amdhsa_float_denorm_mode_16_64 3
		.amdhsa_dx10_clamp 1
		.amdhsa_ieee_mode 1
		.amdhsa_fp16_overflow 0
		.amdhsa_tg_split 0
		.amdhsa_exception_fp_ieee_invalid_op 0
		.amdhsa_exception_fp_denorm_src 0
		.amdhsa_exception_fp_ieee_div_zero 0
		.amdhsa_exception_fp_ieee_overflow 0
		.amdhsa_exception_fp_ieee_underflow 0
		.amdhsa_exception_fp_ieee_inexact 0
		.amdhsa_exception_int_div_zero 0
	.end_amdhsa_kernel
	.section	.text._Z20warp_exchange_kernelILj256ELj4ELj64EN6common25BlockedToStripedShuffleOpEoEvPT3_j,"axG",@progbits,_Z20warp_exchange_kernelILj256ELj4ELj64EN6common25BlockedToStripedShuffleOpEoEvPT3_j,comdat
.Lfunc_end135:
	.size	_Z20warp_exchange_kernelILj256ELj4ELj64EN6common25BlockedToStripedShuffleOpEoEvPT3_j, .Lfunc_end135-_Z20warp_exchange_kernelILj256ELj4ELj64EN6common25BlockedToStripedShuffleOpEoEvPT3_j
                                        ; -- End function
	.section	.AMDGPU.csdata,"",@progbits
; Kernel info:
; codeLenInByte = 1428
; NumSgprs: 18
; NumVgprs: 37
; NumAgprs: 0
; TotalNumVgprs: 37
; ScratchSize: 0
; MemoryBound: 0
; FloatMode: 240
; IeeeMode: 1
; LDSByteSize: 0 bytes/workgroup (compile time only)
; SGPRBlocks: 2
; VGPRBlocks: 4
; NumSGPRsForWavesPerEU: 18
; NumVGPRsForWavesPerEU: 37
; AccumOffset: 40
; Occupancy: 8
; WaveLimiterHint : 0
; COMPUTE_PGM_RSRC2:SCRATCH_EN: 0
; COMPUTE_PGM_RSRC2:USER_SGPR: 2
; COMPUTE_PGM_RSRC2:TRAP_HANDLER: 0
; COMPUTE_PGM_RSRC2:TGID_X_EN: 1
; COMPUTE_PGM_RSRC2:TGID_Y_EN: 0
; COMPUTE_PGM_RSRC2:TGID_Z_EN: 0
; COMPUTE_PGM_RSRC2:TIDIG_COMP_CNT: 0
; COMPUTE_PGM_RSRC3_GFX90A:ACCUM_OFFSET: 9
; COMPUTE_PGM_RSRC3_GFX90A:TG_SPLIT: 0
	.section	.text._Z20warp_exchange_kernelILj256ELj16ELj64EN6common25BlockedToStripedShuffleOpEoEvPT3_j,"axG",@progbits,_Z20warp_exchange_kernelILj256ELj16ELj64EN6common25BlockedToStripedShuffleOpEoEvPT3_j,comdat
	.protected	_Z20warp_exchange_kernelILj256ELj16ELj64EN6common25BlockedToStripedShuffleOpEoEvPT3_j ; -- Begin function _Z20warp_exchange_kernelILj256ELj16ELj64EN6common25BlockedToStripedShuffleOpEoEvPT3_j
	.globl	_Z20warp_exchange_kernelILj256ELj16ELj64EN6common25BlockedToStripedShuffleOpEoEvPT3_j
	.p2align	8
	.type	_Z20warp_exchange_kernelILj256ELj16ELj64EN6common25BlockedToStripedShuffleOpEoEvPT3_j,@function
_Z20warp_exchange_kernelILj256ELj16ELj64EN6common25BlockedToStripedShuffleOpEoEvPT3_j: ; @_Z20warp_exchange_kernelILj256ELj16ELj64EN6common25BlockedToStripedShuffleOpEoEvPT3_j
; %bb.0:
	s_load_dword s3, s[0:1], 0x8
	v_lshlrev_b32_e32 v64, 4, v0
	v_or_b32_e32 v56, 1, v64
	v_or_b32_e32 v44, 2, v64
	;; [unrolled: 1-line block ×14, first 2 shown]
	s_waitcnt lgkmcnt(0)
	s_cmp_eq_u32 s3, 0
	v_or_b32_e32 v12, 15, v64
	v_mov_b32_e32 v65, 0
	s_cbranch_scc1 .LBB136_4
; %bb.1:
	v_mbcnt_lo_u32_b32 v1, -1, 0
	v_mbcnt_hi_u32_b32 v1, -1, v1
	v_and_b32_e32 v2, 3, v1
	v_mov_b32_e32 v3, 0
	v_lshl_add_u32 v66, v2, 4, v3
	v_add_u32_e32 v5, -1, v1
	v_xor_b32_e32 v2, 2, v2
	v_and_b32_e32 v5, 3, v5
	v_lshl_add_u32 v68, v2, 4, v3
	v_add_u32_e32 v2, 3, v2
	v_lshl_add_u32 v67, v5, 4, v3
	v_and_b32_e32 v5, 3, v2
	v_lshlrev_b32_e32 v2, 4, v2
	v_lshl_add_u32 v69, v5, 4, v3
	v_or_b32_e32 v3, 64, v2
	v_or_b32_e32 v2, 0xc0, v2
	v_add_u32_e32 v70, 0, v3
	v_add_u32_e32 v71, 0, v2
	v_and_b32_e32 v2, 64, v1
	v_add_u32_e32 v3, 60, v1
	v_and_or_b32 v3, v3, 63, v2
	v_lshlrev_b32_e32 v72, 2, v3
	v_add_u32_e32 v3, 56, v1
	v_and_or_b32 v3, v3, 63, v2
	v_lshlrev_b32_e32 v73, 2, v3
	;; [unrolled: 3-line block ×7, first 2 shown]
	v_lshlrev_b32_e32 v3, 2, v1
	v_xor_b32_e32 v79, 0x80, v3
	v_add_u32_e32 v3, 28, v1
	v_and_or_b32 v3, v3, 63, v2
	v_lshlrev_b32_e32 v80, 2, v3
	v_add_u32_e32 v3, 24, v1
	v_and_or_b32 v3, v3, 63, v2
	v_lshlrev_b32_e32 v81, 2, v3
	;; [unrolled: 3-line block ×7, first 2 shown]
	v_lshrrev_b32_e32 v2, 2, v1
	v_add_u32_e32 v5, -1, v2
	v_mov_b32_e32 v3, 0x100
	v_and_b32_e32 v5, 15, v5
	v_lshl_add_u32 v88, v5, 4, v3
	v_add_u32_e32 v5, 14, v2
	v_and_b32_e32 v5, 15, v5
	v_lshl_add_u32 v89, v5, 4, v3
	v_add_u32_e32 v5, 13, v2
	;; [unrolled: 3-line block ×4, first 2 shown]
	v_and_b32_e32 v5, 15, v5
	v_bfe_u32 v1, v1, 2, 4
	v_lshl_add_u32 v92, v5, 4, v3
	v_add_u32_e32 v5, 10, v2
	v_add_u32_e32 v2, 9, v2
	v_lshl_add_u32 v87, v1, 4, v3
	v_and_b32_e32 v2, 15, v2
	v_xor_b32_e32 v1, 8, v1
	v_lshl_add_u32 v94, v2, 4, v3
	v_add_u32_e32 v2, -1, v1
	v_and_b32_e32 v2, 15, v2
	v_lshl_add_u32 v96, v2, 4, v3
	v_add_u32_e32 v2, 14, v1
	v_and_b32_e32 v2, 15, v2
	v_lshl_add_u32 v97, v2, 4, v3
	v_add_u32_e32 v2, 13, v1
	;; [unrolled: 3-line block ×4, first 2 shown]
	v_and_b32_e32 v2, 15, v2
	v_lshl_add_u32 v95, v1, 4, v3
	v_lshl_add_u32 v100, v2, 4, v3
	v_add_u32_e32 v2, 10, v1
	v_add_u32_e32 v1, 9, v1
	v_mov_b64_e32 v[14:15], 0
	v_and_b32_e32 v5, 15, v5
	v_and_b32_e32 v2, 15, v2
	;; [unrolled: 1-line block ×3, first 2 shown]
	v_mov_b32_e32 v13, v65
	v_mov_b32_e32 v9, v65
	;; [unrolled: 1-line block ×7, first 2 shown]
	v_lshl_add_u32 v93, v5, 4, v3
	v_lshl_add_u32 v101, v2, 4, v3
	;; [unrolled: 1-line block ×3, first 2 shown]
	v_mov_b64_e32 v[10:11], v[14:15]
	v_mov_b64_e32 v[18:19], v[14:15]
	;; [unrolled: 1-line block ×6, first 2 shown]
	v_mov_b32_e32 v41, v65
	v_mov_b64_e32 v[42:43], v[14:15]
	v_mov_b32_e32 v1, v65
	v_mov_b64_e32 v[2:3], v[14:15]
	v_mov_b32_e32 v6, v65
	v_mov_b32_e32 v7, v65
	;; [unrolled: 1-line block ×6, first 2 shown]
	v_mov_b64_e32 v[50:51], v[14:15]
	v_mov_b32_e32 v37, v65
	v_mov_b32_e32 v38, v65
	;; [unrolled: 1-line block ×9, first 2 shown]
	v_mov_b64_e32 v[62:63], 0
	v_mov_b64_e32 v[60:61], v[64:65]
.LBB136_2:                              ; =>This Inner Loop Header: Depth=1
	s_waitcnt lgkmcnt(0)
	scratch_store_dwordx4 off, v[12:15], off offset:240
	scratch_load_dwordx2 v[104:105], off, off offset:248
	v_mov_b32_dpp v44, v44 quad_perm:[2,3,0,1] row_mask:0xf bank_mask:0xf
	scratch_store_dwordx4 off, v[20:23], off offset:176
	scratch_load_dwordx2 v[106:107], off, off offset:184
	s_waitcnt vmcnt(4)
	scratch_store_dwordx4 off, v[60:63], off
	scratch_store_dwordx4 off, v[48:51], off offset:64
	scratch_store_dwordx4 off, v[40:43], off offset:128
	scratch_store_dwordx4 off, v[52:55], off offset:192
	v_mov_b32_dpp v48, v12 quad_perm:[1,2,3,0] row_mask:0xf bank_mask:0xf
	v_mov_b32_dpp v40, v56 quad_perm:[3,0,1,2] row_mask:0xf bank_mask:0xf
	;; [unrolled: 1-line block ×21, first 2 shown]
	scratch_store_dwordx4 off, v[40:43], off offset:16
	scratch_store_dwordx4 off, v[44:47], off offset:32
	;; [unrolled: 1-line block ×4, first 2 shown]
	v_mov_b32_dpp v28, v28 quad_perm:[3,0,1,2] row_mask:0xf bank_mask:0xf
	v_mov_b32_dpp v29, v29 quad_perm:[3,0,1,2] row_mask:0xf bank_mask:0xf
	v_mov_b32_dpp v30, v30 quad_perm:[3,0,1,2] row_mask:0xf bank_mask:0xf
	v_mov_b32_dpp v31, v31 quad_perm:[3,0,1,2] row_mask:0xf bank_mask:0xf
	v_mov_b32_dpp v22, v24 quad_perm:[2,3,0,1] row_mask:0xf bank_mask:0xf
	v_mov_b32_dpp v23, v25 quad_perm:[2,3,0,1] row_mask:0xf bank_mask:0xf
	v_mov_b32_dpp v24, v26 quad_perm:[2,3,0,1] row_mask:0xf bank_mask:0xf
	v_mov_b32_dpp v25, v27 quad_perm:[2,3,0,1] row_mask:0xf bank_mask:0xf
	v_mov_b32_dpp v14, v20 quad_perm:[1,2,3,0] row_mask:0xf bank_mask:0xf
	v_mov_b32_dpp v15, v21 quad_perm:[1,2,3,0] row_mask:0xf bank_mask:0xf
	v_mov_b32_dpp v32, v32 quad_perm:[3,0,1,2] row_mask:0xf bank_mask:0xf
	v_mov_b32_dpp v33, v33 quad_perm:[3,0,1,2] row_mask:0xf bank_mask:0xf
	v_mov_b32_dpp v34, v34 quad_perm:[3,0,1,2] row_mask:0xf bank_mask:0xf
	v_mov_b32_dpp v35, v35 quad_perm:[3,0,1,2] row_mask:0xf bank_mask:0xf
	v_mov_b32_dpp v4, v4 quad_perm:[2,3,0,1] row_mask:0xf bank_mask:0xf
	v_mov_b32_dpp v5, v65 quad_perm:[2,3,0,1] row_mask:0xf bank_mask:0xf
	v_mov_b32_dpp v6, v6 quad_perm:[2,3,0,1] row_mask:0xf bank_mask:0xf
	v_mov_b32_dpp v7, v7 quad_perm:[2,3,0,1] row_mask:0xf bank_mask:0xf
	v_mov_b32_dpp v0, v0 quad_perm:[1,2,3,0] row_mask:0xf bank_mask:0xf
	v_mov_b32_dpp v1, v1 quad_perm:[1,2,3,0] row_mask:0xf bank_mask:0xf
	v_mov_b32_dpp v2, v2 quad_perm:[1,2,3,0] row_mask:0xf bank_mask:0xf
	v_mov_b32_dpp v3, v3 quad_perm:[1,2,3,0] row_mask:0xf bank_mask:0xf
	s_add_i32 s3, s3, -1
	s_cmp_eq_u32 s3, 0
	s_waitcnt vmcnt(10)
	v_mov_b32_dpp v50, v104 quad_perm:[1,2,3,0] row_mask:0xf bank_mask:0xf
	v_mov_b32_dpp v51, v105 quad_perm:[1,2,3,0] row_mask:0xf bank_mask:0xf
	scratch_store_dwordx4 off, v[48:51], off offset:240
	scratch_load_dwordx4 v[40:43], v67, off offset:192
	s_nop 0
	scratch_store_dwordx4 off, v[36:39], off offset:48
	scratch_store_dwordx4 off, v[28:31], off offset:144
	;; [unrolled: 1-line block ×3, first 2 shown]
	s_waitcnt vmcnt(13)
	v_mov_b32_dpp v16, v106 quad_perm:[1,2,3,0] row_mask:0xf bank_mask:0xf
	v_mov_b32_dpp v17, v107 quad_perm:[1,2,3,0] row_mask:0xf bank_mask:0xf
	scratch_load_dwordx4 v[36:39], v68, off
	s_nop 0
	scratch_store_dwordx4 off, v[14:17], off offset:176
	scratch_load_dwordx4 v[8:11], v68, off offset:128
	s_nop 0
	scratch_load_dwordx4 v[16:19], v68, off offset:192
	scratch_load_dwordx4 v[12:15], v71, off
	s_nop 0
	scratch_store_dwordx4 off, v[32:35], off offset:80
	scratch_store_dwordx4 off, v[4:7], off offset:96
	;; [unrolled: 1-line block ×3, first 2 shown]
	scratch_load_dwordx4 v[44:47], v68, off offset:64
	s_nop 0
	scratch_load_dwordx4 v[4:7], v69, off offset:128
	scratch_load_dwordx4 v[0:3], v70, off
	scratch_load_dwordx4 v[48:51], v66, off offset:64
	scratch_load_dwordx4 v[52:55], v67, off
	;; [unrolled: 2-line block ×3, first 2 shown]
	scratch_load_dwordx4 v[24:27], v66, off offset:128
	scratch_load_dwordx4 v[28:31], v66, off offset:192
	;; [unrolled: 1-line block ×3, first 2 shown]
	s_waitcnt vmcnt(21)
	scratch_store_dwordx4 off, v[40:43], off offset:368
	scratch_load_dwordx4 v[32:35], off, off offset:368
	s_waitcnt vmcnt(19)
	scratch_store_dwordx4 off, v[36:39], off offset:384
	scratch_load_dwordx4 v[40:43], off, off offset:384
	s_waitcnt vmcnt(2)
	v_mov_b32_dpp v32, v32 quad_perm:[1,2,3,0] row_mask:0xf bank_mask:0xf
	scratch_store_dwordx4 off, v[8:11], off offset:416
	scratch_load_dwordx3 v[108:110], off, off offset:420
	s_nop 0
	scratch_store_dwordx4 off, v[16:19], off offset:432
	scratch_store_dwordx4 off, v[12:15], off offset:496
	scratch_load_dwordx3 v[36:38], off, off offset:436
	s_nop 0
	scratch_load_dword v15, off, off offset:508
	v_mov_b32_dpp v18, v20 quad_perm:[1,2,3,0] row_mask:0xf bank_mask:0xf
	scratch_store_dwordx4 off, v[44:47], off offset:400
	scratch_load_dwordx4 v[44:47], off, off offset:400
	v_mov_b32_dpp v19, v21 quad_perm:[1,2,3,0] row_mask:0xf bank_mask:0xf
	scratch_store_dwordx4 off, v[4:7], off offset:480
	scratch_load_dword v7, off, off offset:492
	v_mov_b32_dpp v20, v22 quad_perm:[1,2,3,0] row_mask:0xf bank_mask:0xf
	scratch_store_dwordx4 off, v[0:3], off offset:464
	scratch_load_dword v3, off, off offset:476
	s_nop 0
	scratch_load_dwordx4 v[104:107], v66, off
	v_mov_b32_dpp v21, v23 quad_perm:[1,2,3,0] row_mask:0xf bank_mask:0xf
	scratch_store_dwordx4 off, v[48:51], off offset:272
	v_mov_b32_dpp v33, v33 quad_perm:[1,2,3,0] row_mask:0xf bank_mask:0xf
	v_mov_b32_dpp v34, v34 quad_perm:[1,2,3,0] row_mask:0xf bank_mask:0xf
	;; [unrolled: 1-line block ×10, first 2 shown]
	scratch_store_dwordx4 off, v[48:51], off offset:320
	scratch_store_dwordx4 off, v[52:55], off offset:336
	scratch_load_dwordx4 v[48:51], off, off offset:272
	s_nop 0
	scratch_load_dwordx4 v[52:55], off, off offset:336
	s_nop 0
	scratch_store_dwordx4 off, v[24:27], off offset:288
	scratch_store_dwordx4 off, v[28:31], off offset:304
	scratch_load_dwordx4 v[24:27], off, off offset:288
	v_mov_b32_dpp v56, v60 quad_perm:[3,0,1,2] row_mask:0xf bank_mask:0xf
	scratch_load_dwordx4 v[28:31], off, off offset:304
	v_mov_b32_dpp v57, v61 quad_perm:[3,0,1,2] row_mask:0xf bank_mask:0xf
	v_mov_b32_dpp v58, v62 quad_perm:[3,0,1,2] row_mask:0xf bank_mask:0xf
	;; [unrolled: 1-line block ×3, first 2 shown]
	scratch_load_dwordx4 v[60:63], off, off offset:320
	v_mov_b32_dpp v35, v35 quad_perm:[1,2,3,0] row_mask:0xf bank_mask:0xf
	scratch_store_dwordx4 off, v[18:21], off offset:352
	scratch_load_dwordx4 v[20:23], off, off offset:352
	s_waitcnt vmcnt(25)
	v_mov_b32_dpp v40, v40 quad_perm:[2,3,0,1] row_mask:0xf bank_mask:0xf
	scratch_store_dwordx4 off, v[56:59], off offset:448
	scratch_load_dwordx4 v[56:59], off, off offset:448
	v_mov_b32_dpp v41, v41 quad_perm:[2,3,0,1] row_mask:0xf bank_mask:0xf
	v_mov_b32_dpp v42, v42 quad_perm:[2,3,0,1] row_mask:0xf bank_mask:0xf
	;; [unrolled: 1-line block ×3, first 2 shown]
	scratch_store_dwordx4 off, v[32:35], off offset:368
	v_mov_b32_dpp v8, v8 quad_perm:[2,3,0,1] row_mask:0xf bank_mask:0xf
	scratch_load_dwordx4 v[32:35], off, off offset:368
	v_mov_b32_dpp v12, v12 quad_perm:[3,0,1,2] row_mask:0xf bank_mask:0xf
	scratch_store_dwordx4 off, v[40:43], off offset:384
	scratch_load_dwordx4 v[40:43], off, off offset:384
	v_mov_b32_dpp v13, v13 quad_perm:[3,0,1,2] row_mask:0xf bank_mask:0xf
	v_mov_b32_dpp v14, v14 quad_perm:[3,0,1,2] row_mask:0xf bank_mask:0xf
	;; [unrolled: 1-line block ×9, first 2 shown]
	s_waitcnt vmcnt(29)
	v_mov_b32_dpp v9, v108 quad_perm:[2,3,0,1] row_mask:0xf bank_mask:0xf
	v_mov_b32_dpp v10, v109 quad_perm:[2,3,0,1] row_mask:0xf bank_mask:0xf
	;; [unrolled: 1-line block ×3, first 2 shown]
	s_waitcnt vmcnt(25)
	v_mov_b32_dpp v15, v15 quad_perm:[3,0,1,2] row_mask:0xf bank_mask:0xf
	scratch_store_dwordx4 off, v[8:11], off offset:416
	scratch_load_dwordx4 v[8:11], off, off offset:416
	v_mov_b32_dpp v17, v36 quad_perm:[2,3,0,1] row_mask:0xf bank_mask:0xf
	scratch_store_dwordx4 off, v[12:15], off offset:496
	scratch_load_dwordx4 v[108:111], off, off offset:496
	v_mov_b32_dpp v18, v37 quad_perm:[2,3,0,1] row_mask:0xf bank_mask:0xf
	s_waitcnt vmcnt(27)
	v_mov_b32_dpp v12, v44 quad_perm:[2,3,0,1] row_mask:0xf bank_mask:0xf
	v_mov_b32_dpp v13, v45 quad_perm:[2,3,0,1] row_mask:0xf bank_mask:0xf
	;; [unrolled: 1-line block ×4, first 2 shown]
	scratch_store_dwordx4 off, v[12:15], off offset:400
	scratch_load_dwordx4 v[12:15], off, off offset:400
	v_mov_b32_dpp v19, v38 quad_perm:[2,3,0,1] row_mask:0xf bank_mask:0xf
	s_waitcnt vmcnt(27)
	v_mov_b32_dpp v7, v7 quad_perm:[3,0,1,2] row_mask:0xf bank_mask:0xf
	s_waitcnt vmcnt(25)
	v_mov_b32_dpp v3, v3 quad_perm:[3,0,1,2] row_mask:0xf bank_mask:0xf
	scratch_store_dwordx4 off, v[16:19], off offset:432
	scratch_store_dwordx4 off, v[4:7], off offset:480
	;; [unrolled: 1-line block ×3, first 2 shown]
	scratch_load_dwordx4 v[16:19], off, off offset:432
	s_waitcnt vmcnt(24)
	ds_bpermute_b32 v36, v72, v48
	scratch_load_dwordx4 v[4:7], off, off offset:480
	scratch_load_dwordx4 v[0:3], off, off offset:464
	ds_bpermute_b32 v37, v72, v49
	ds_bpermute_b32 v38, v72, v50
	ds_bpermute_b32 v39, v72, v51
	s_waitcnt vmcnt(25)
	ds_bpermute_b32 v44, v76, v52
	ds_bpermute_b32 v45, v76, v53
	ds_bpermute_b32 v46, v76, v54
	ds_bpermute_b32 v47, v76, v55
	s_waitcnt vmcnt(22)
	ds_bpermute_b32 v24, v73, v24
	;; [unrolled: 5-line block ×3, first 2 shown]
	ds_bpermute_b32 v29, v74, v29
	ds_bpermute_b32 v30, v74, v30
	ds_bpermute_b32 v31, v74, v31
	scratch_store_dwordx4 off, v[104:107], off offset:256
	s_waitcnt lgkmcnt(12)
	scratch_store_dwordx4 off, v[36:39], off offset:272
	s_waitcnt lgkmcnt(8)
	scratch_store_dwordx4 off, v[44:47], off offset:336
	s_waitcnt vmcnt(23)
	ds_bpermute_b32 v36, v75, v60
	ds_bpermute_b32 v37, v75, v61
	ds_bpermute_b32 v38, v75, v62
	ds_bpermute_b32 v39, v75, v63
	s_waitcnt vmcnt(21)
	ds_bpermute_b32 v20, v77, v20
	ds_bpermute_b32 v21, v77, v21
	ds_bpermute_b32 v22, v77, v22
	ds_bpermute_b32 v23, v77, v23
	;; [unrolled: 5-line block ×3, first 2 shown]
	s_waitcnt lgkmcnt(14)
	scratch_store_dwordx4 off, v[24:27], off offset:288
	s_waitcnt lgkmcnt(12)
	scratch_store_dwordx4 off, v[28:31], off offset:304
	;; [unrolled: 2-line block ×5, first 2 shown]
	s_waitcnt vmcnt(22)
	ds_bpermute_b32 v20, v78, v32
	ds_bpermute_b32 v21, v78, v33
	ds_bpermute_b32 v22, v78, v34
	ds_bpermute_b32 v23, v78, v35
	s_waitcnt vmcnt(20)
	ds_bpermute_b32 v24, v79, v40
	ds_bpermute_b32 v25, v79, v41
	ds_bpermute_b32 v26, v79, v42
	ds_bpermute_b32 v27, v79, v43
	;; [unrolled: 5-line block ×8, first 2 shown]
	s_waitcnt lgkmcnt(14)
	scratch_store_dwordx4 off, v[20:23], off offset:368
	scratch_store_dwordx4 off, v[24:27], off offset:384
	;; [unrolled: 1-line block ×4, first 2 shown]
	s_waitcnt lgkmcnt(12)
	scratch_store_dwordx4 off, v[12:15], off offset:400
	s_waitcnt lgkmcnt(8)
	scratch_store_dwordx4 off, v[16:19], off offset:432
	;; [unrolled: 2-line block ×4, first 2 shown]
	scratch_load_dwordx4 v[0:3], v88, off
	s_nop 0
	scratch_load_dwordx4 v[4:7], v89, off
	scratch_load_dwordx4 v[8:11], v90, off
	;; [unrolled: 1-line block ×15, first 2 shown]
	; wave barrier
	s_waitcnt vmcnt(15)
	ds_bpermute_b32 v56, v86, v0
	ds_bpermute_b32 v57, v86, v1
	ds_bpermute_b32 v58, v86, v2
	ds_bpermute_b32 v59, v86, v3
	s_waitcnt vmcnt(14)
	ds_bpermute_b32 v44, v85, v4
	ds_bpermute_b32 v45, v85, v5
	ds_bpermute_b32 v46, v85, v6
	ds_bpermute_b32 v47, v85, v7
	;; [unrolled: 5-line block ×15, first 2 shown]
	s_cbranch_scc0 .LBB136_2
; %bb.3:
	s_waitcnt lgkmcnt(14)
	v_mov_b32_e32 v5, v65
	s_branch .LBB136_5
.LBB136_4:
	v_mov_b64_e32 v[62:63], 0
	v_mov_b64_e32 v[14:15], 0
	v_mov_b32_e32 v57, v65
	v_mov_b32_e32 v45, v65
	v_mov_b32_e32 v37, v65
	v_mov_b32_e32 v49, v65
	v_mov_b32_e32 v33, v65
	v_mov_b32_e32 v5, v65
	v_mov_b32_e32 v1, v65
	v_mov_b32_e32 v41, v65
	v_mov_b32_e32 v29, v65
	v_mov_b32_e32 v25, v65
	v_mov_b32_e32 v21, v65
	v_mov_b32_e32 v53, v65
	v_mov_b32_e32 v13, v65
	v_mov_b64_e32 v[60:61], v[64:65]
	v_mov_b64_e32 v[58:59], v[62:63]
	v_mov_b64_e32 v[46:47], v[62:63]
	v_mov_b64_e32 v[38:39], v[62:63]
	v_mov_b64_e32 v[50:51], v[62:63]
	v_mov_b64_e32 v[34:35], v[62:63]
	v_mov_b64_e32 v[6:7], v[62:63]
	v_mov_b64_e32 v[2:3], v[62:63]
	v_mov_b64_e32 v[42:43], v[62:63]
	v_mov_b64_e32 v[30:31], v[62:63]
	v_mov_b64_e32 v[26:27], v[62:63]
	v_mov_b64_e32 v[22:23], v[62:63]
	v_mov_b64_e32 v[54:55], v[62:63]
	v_mov_b32_e32 v17, v65
	v_mov_b64_e32 v[18:19], v[62:63]
	v_mov_b32_e32 v9, v65
	v_mov_b64_e32 v[10:11], v[62:63]
.LBB136_5:
	s_load_dwordx2 s[0:1], s[0:1], 0x0
	v_lshl_or_b32 v64, s2, 12, v64
	v_mov_b32_e32 v65, 0
	s_waitcnt lgkmcnt(0)
	v_lshl_add_u64 v[64:65], v[64:65], 4, s[0:1]
	s_waitcnt vmcnt(0)
	global_store_dwordx4 v[64:65], v[60:63], off
	global_store_dwordx4 v[64:65], v[56:59], off offset:16
	global_store_dwordx4 v[64:65], v[44:47], off offset:32
	;; [unrolled: 1-line block ×15, first 2 shown]
	s_endpgm
	.section	.rodata,"a",@progbits
	.p2align	6, 0x0
	.amdhsa_kernel _Z20warp_exchange_kernelILj256ELj16ELj64EN6common25BlockedToStripedShuffleOpEoEvPT3_j
		.amdhsa_group_segment_fixed_size 0
		.amdhsa_private_segment_fixed_size 528
		.amdhsa_kernarg_size 12
		.amdhsa_user_sgpr_count 2
		.amdhsa_user_sgpr_dispatch_ptr 0
		.amdhsa_user_sgpr_queue_ptr 0
		.amdhsa_user_sgpr_kernarg_segment_ptr 1
		.amdhsa_user_sgpr_dispatch_id 0
		.amdhsa_user_sgpr_kernarg_preload_length 0
		.amdhsa_user_sgpr_kernarg_preload_offset 0
		.amdhsa_user_sgpr_private_segment_size 0
		.amdhsa_uses_dynamic_stack 0
		.amdhsa_enable_private_segment 1
		.amdhsa_system_sgpr_workgroup_id_x 1
		.amdhsa_system_sgpr_workgroup_id_y 0
		.amdhsa_system_sgpr_workgroup_id_z 0
		.amdhsa_system_sgpr_workgroup_info 0
		.amdhsa_system_vgpr_workitem_id 0
		.amdhsa_next_free_vgpr 128
		.amdhsa_next_free_sgpr 4
		.amdhsa_accum_offset 128
		.amdhsa_reserve_vcc 0
		.amdhsa_float_round_mode_32 0
		.amdhsa_float_round_mode_16_64 0
		.amdhsa_float_denorm_mode_32 3
		.amdhsa_float_denorm_mode_16_64 3
		.amdhsa_dx10_clamp 1
		.amdhsa_ieee_mode 1
		.amdhsa_fp16_overflow 0
		.amdhsa_tg_split 0
		.amdhsa_exception_fp_ieee_invalid_op 0
		.amdhsa_exception_fp_denorm_src 0
		.amdhsa_exception_fp_ieee_div_zero 0
		.amdhsa_exception_fp_ieee_overflow 0
		.amdhsa_exception_fp_ieee_underflow 0
		.amdhsa_exception_fp_ieee_inexact 0
		.amdhsa_exception_int_div_zero 0
	.end_amdhsa_kernel
	.section	.text._Z20warp_exchange_kernelILj256ELj16ELj64EN6common25BlockedToStripedShuffleOpEoEvPT3_j,"axG",@progbits,_Z20warp_exchange_kernelILj256ELj16ELj64EN6common25BlockedToStripedShuffleOpEoEvPT3_j,comdat
.Lfunc_end136:
	.size	_Z20warp_exchange_kernelILj256ELj16ELj64EN6common25BlockedToStripedShuffleOpEoEvPT3_j, .Lfunc_end136-_Z20warp_exchange_kernelILj256ELj16ELj64EN6common25BlockedToStripedShuffleOpEoEvPT3_j
                                        ; -- End function
	.section	.AMDGPU.csdata,"",@progbits
; Kernel info:
; codeLenInByte = 4060
; NumSgprs: 10
; NumVgprs: 128
; NumAgprs: 0
; TotalNumVgprs: 128
; ScratchSize: 528
; MemoryBound: 0
; FloatMode: 240
; IeeeMode: 1
; LDSByteSize: 0 bytes/workgroup (compile time only)
; SGPRBlocks: 1
; VGPRBlocks: 15
; NumSGPRsForWavesPerEU: 10
; NumVGPRsForWavesPerEU: 128
; AccumOffset: 128
; Occupancy: 4
; WaveLimiterHint : 1
; COMPUTE_PGM_RSRC2:SCRATCH_EN: 1
; COMPUTE_PGM_RSRC2:USER_SGPR: 2
; COMPUTE_PGM_RSRC2:TRAP_HANDLER: 0
; COMPUTE_PGM_RSRC2:TGID_X_EN: 1
; COMPUTE_PGM_RSRC2:TGID_Y_EN: 0
; COMPUTE_PGM_RSRC2:TGID_Z_EN: 0
; COMPUTE_PGM_RSRC2:TIDIG_COMP_CNT: 0
; COMPUTE_PGM_RSRC3_GFX90A:ACCUM_OFFSET: 31
; COMPUTE_PGM_RSRC3_GFX90A:TG_SPLIT: 0
	.section	.text._Z20warp_exchange_kernelILj256ELj1ELj64EN6common25StripedToBlockedShuffleOpEoEvPT3_j,"axG",@progbits,_Z20warp_exchange_kernelILj256ELj1ELj64EN6common25StripedToBlockedShuffleOpEoEvPT3_j,comdat
	.protected	_Z20warp_exchange_kernelILj256ELj1ELj64EN6common25StripedToBlockedShuffleOpEoEvPT3_j ; -- Begin function _Z20warp_exchange_kernelILj256ELj1ELj64EN6common25StripedToBlockedShuffleOpEoEvPT3_j
	.globl	_Z20warp_exchange_kernelILj256ELj1ELj64EN6common25StripedToBlockedShuffleOpEoEvPT3_j
	.p2align	8
	.type	_Z20warp_exchange_kernelILj256ELj1ELj64EN6common25StripedToBlockedShuffleOpEoEvPT3_j,@function
_Z20warp_exchange_kernelILj256ELj1ELj64EN6common25StripedToBlockedShuffleOpEoEvPT3_j: ; @_Z20warp_exchange_kernelILj256ELj1ELj64EN6common25StripedToBlockedShuffleOpEoEvPT3_j
; %bb.0:
	s_load_dword s3, s[0:1], 0x8
	v_mov_b32_e32 v5, 0
	s_waitcnt lgkmcnt(0)
	s_cmp_eq_u32 s3, 0
	s_cbranch_scc1 .LBB137_3
; %bb.1:
	v_mbcnt_lo_u32_b32 v1, -1, 0
	v_mbcnt_hi_u32_b32 v1, -1, v1
	v_lshlrev_b32_e32 v1, 2, v1
	v_mov_b32_e32 v2, v0
	v_mov_b32_e32 v3, 0
	;; [unrolled: 1-line block ×3, first 2 shown]
.LBB137_2:                              ; =>This Inner Loop Header: Depth=1
	s_waitcnt lgkmcnt(3)
	ds_bpermute_b32 v2, v1, v2
	s_waitcnt lgkmcnt(3)
	ds_bpermute_b32 v3, v1, v3
	;; [unrolled: 2-line block ×4, first 2 shown]
	s_add_i32 s3, s3, -1
	s_cmp_lg_u32 s3, 0
	; wave barrier
	s_cbranch_scc1 .LBB137_2
	s_branch .LBB137_4
.LBB137_3:
	v_mov_b32_e32 v2, v0
	v_mov_b32_e32 v3, 0
	;; [unrolled: 1-line block ×3, first 2 shown]
.LBB137_4:
	s_load_dwordx2 s[0:1], s[0:1], 0x0
	v_lshl_or_b32 v0, s2, 8, v0
	v_mov_b32_e32 v1, 0
	s_waitcnt lgkmcnt(0)
	v_lshl_add_u64 v[0:1], v[0:1], 4, s[0:1]
	global_store_dwordx4 v[0:1], v[2:5], off
	s_endpgm
	.section	.rodata,"a",@progbits
	.p2align	6, 0x0
	.amdhsa_kernel _Z20warp_exchange_kernelILj256ELj1ELj64EN6common25StripedToBlockedShuffleOpEoEvPT3_j
		.amdhsa_group_segment_fixed_size 0
		.amdhsa_private_segment_fixed_size 0
		.amdhsa_kernarg_size 12
		.amdhsa_user_sgpr_count 2
		.amdhsa_user_sgpr_dispatch_ptr 0
		.amdhsa_user_sgpr_queue_ptr 0
		.amdhsa_user_sgpr_kernarg_segment_ptr 1
		.amdhsa_user_sgpr_dispatch_id 0
		.amdhsa_user_sgpr_kernarg_preload_length 0
		.amdhsa_user_sgpr_kernarg_preload_offset 0
		.amdhsa_user_sgpr_private_segment_size 0
		.amdhsa_uses_dynamic_stack 0
		.amdhsa_enable_private_segment 0
		.amdhsa_system_sgpr_workgroup_id_x 1
		.amdhsa_system_sgpr_workgroup_id_y 0
		.amdhsa_system_sgpr_workgroup_id_z 0
		.amdhsa_system_sgpr_workgroup_info 0
		.amdhsa_system_vgpr_workitem_id 0
		.amdhsa_next_free_vgpr 6
		.amdhsa_next_free_sgpr 4
		.amdhsa_accum_offset 8
		.amdhsa_reserve_vcc 0
		.amdhsa_float_round_mode_32 0
		.amdhsa_float_round_mode_16_64 0
		.amdhsa_float_denorm_mode_32 3
		.amdhsa_float_denorm_mode_16_64 3
		.amdhsa_dx10_clamp 1
		.amdhsa_ieee_mode 1
		.amdhsa_fp16_overflow 0
		.amdhsa_tg_split 0
		.amdhsa_exception_fp_ieee_invalid_op 0
		.amdhsa_exception_fp_denorm_src 0
		.amdhsa_exception_fp_ieee_div_zero 0
		.amdhsa_exception_fp_ieee_overflow 0
		.amdhsa_exception_fp_ieee_underflow 0
		.amdhsa_exception_fp_ieee_inexact 0
		.amdhsa_exception_int_div_zero 0
	.end_amdhsa_kernel
	.section	.text._Z20warp_exchange_kernelILj256ELj1ELj64EN6common25StripedToBlockedShuffleOpEoEvPT3_j,"axG",@progbits,_Z20warp_exchange_kernelILj256ELj1ELj64EN6common25StripedToBlockedShuffleOpEoEvPT3_j,comdat
.Lfunc_end137:
	.size	_Z20warp_exchange_kernelILj256ELj1ELj64EN6common25StripedToBlockedShuffleOpEoEvPT3_j, .Lfunc_end137-_Z20warp_exchange_kernelILj256ELj1ELj64EN6common25StripedToBlockedShuffleOpEoEvPT3_j
                                        ; -- End function
	.section	.AMDGPU.csdata,"",@progbits
; Kernel info:
; codeLenInByte = 176
; NumSgprs: 10
; NumVgprs: 6
; NumAgprs: 0
; TotalNumVgprs: 6
; ScratchSize: 0
; MemoryBound: 0
; FloatMode: 240
; IeeeMode: 1
; LDSByteSize: 0 bytes/workgroup (compile time only)
; SGPRBlocks: 1
; VGPRBlocks: 0
; NumSGPRsForWavesPerEU: 10
; NumVGPRsForWavesPerEU: 6
; AccumOffset: 8
; Occupancy: 8
; WaveLimiterHint : 0
; COMPUTE_PGM_RSRC2:SCRATCH_EN: 0
; COMPUTE_PGM_RSRC2:USER_SGPR: 2
; COMPUTE_PGM_RSRC2:TRAP_HANDLER: 0
; COMPUTE_PGM_RSRC2:TGID_X_EN: 1
; COMPUTE_PGM_RSRC2:TGID_Y_EN: 0
; COMPUTE_PGM_RSRC2:TGID_Z_EN: 0
; COMPUTE_PGM_RSRC2:TIDIG_COMP_CNT: 0
; COMPUTE_PGM_RSRC3_GFX90A:ACCUM_OFFSET: 1
; COMPUTE_PGM_RSRC3_GFX90A:TG_SPLIT: 0
	.section	.text._Z20warp_exchange_kernelILj256ELj4ELj64EN6common25StripedToBlockedShuffleOpEoEvPT3_j,"axG",@progbits,_Z20warp_exchange_kernelILj256ELj4ELj64EN6common25StripedToBlockedShuffleOpEoEvPT3_j,comdat
	.protected	_Z20warp_exchange_kernelILj256ELj4ELj64EN6common25StripedToBlockedShuffleOpEoEvPT3_j ; -- Begin function _Z20warp_exchange_kernelILj256ELj4ELj64EN6common25StripedToBlockedShuffleOpEoEvPT3_j
	.globl	_Z20warp_exchange_kernelILj256ELj4ELj64EN6common25StripedToBlockedShuffleOpEoEvPT3_j
	.p2align	8
	.type	_Z20warp_exchange_kernelILj256ELj4ELj64EN6common25StripedToBlockedShuffleOpEoEvPT3_j,@function
_Z20warp_exchange_kernelILj256ELj4ELj64EN6common25StripedToBlockedShuffleOpEoEvPT3_j: ; @_Z20warp_exchange_kernelILj256ELj4ELj64EN6common25StripedToBlockedShuffleOpEoEvPT3_j
; %bb.0:
	s_load_dword s3, s[0:1], 0x8
	v_lshlrev_b32_e32 v16, 2, v0
	v_mov_b32_e32 v17, 0
	v_or_b32_e32 v22, 1, v16
	v_or_b32_e32 v20, 2, v16
	s_waitcnt lgkmcnt(0)
	s_cmp_eq_u32 s3, 0
	v_or_b32_e32 v18, 3, v16
	s_cbranch_scc1 .LBB138_27
; %bb.1:
	v_mbcnt_lo_u32_b32 v0, -1, 0
	v_mbcnt_hi_u32_b32 v0, -1, v0
	v_lshlrev_b32_e32 v1, 2, v0
	v_and_b32_e32 v2, 64, v0
	v_and_or_b32 v1, v1, 60, v2
	v_lshrrev_b32_e32 v2, 4, v0
	v_lshlrev_b32_e32 v26, 2, v1
	v_cmp_gt_u32_e32 vcc, 16, v0
	v_cmp_eq_u32_e64 s[8:9], 1, v2
	v_cmp_eq_u32_e64 s[4:5], 2, v2
	;; [unrolled: 1-line block ×3, first 2 shown]
	v_or_b32_e32 v27, 4, v26
	v_or_b32_e32 v28, 8, v26
	;; [unrolled: 1-line block ×3, first 2 shown]
	v_mov_b32_e32 v30, 0
	v_mov_b32_e32 v31, 0
	;; [unrolled: 1-line block ×12, first 2 shown]
	s_branch .LBB138_3
.LBB138_2:                              ;   in Loop: Header=BB138_3 Depth=1
	s_or_b64 exec, exec, s[10:11]
	s_add_i32 s3, s3, -1
	s_cmp_lg_u32 s3, 0
	s_waitcnt lgkmcnt(3)
	v_mov_b32_e32 v18, v12
	v_mov_b32_e32 v17, v13
	;; [unrolled: 1-line block ×4, first 2 shown]
	s_waitcnt lgkmcnt(1)
	v_mov_b32_e32 v20, v8
	v_mov_b32_e32 v19, v9
	v_mov_b32_e32 v32, v10
	v_mov_b32_e32 v33, v11
	v_mov_b32_e32 v22, v4
	s_waitcnt lgkmcnt(0)
	v_mov_b32_e32 v21, v5
	v_mov_b32_e32 v24, v6
	v_mov_b32_e32 v25, v7
	v_mov_b32_e32 v23, v0
	v_mov_b32_e32 v34, v1
	v_mov_b32_e32 v35, v2
	v_mov_b32_e32 v36, v3
	; wave barrier
	s_cbranch_scc0 .LBB138_28
.LBB138_3:                              ; =>This Inner Loop Header: Depth=1
	ds_bpermute_b32 v0, v26, v23
	ds_bpermute_b32 v1, v26, v34
	;; [unrolled: 1-line block ×4, first 2 shown]
	s_and_saveexec_b64 s[10:11], vcc
	s_or_b64 exec, exec, s[10:11]
	ds_bpermute_b32 v4, v26, v22
	ds_bpermute_b32 v5, v26, v21
	;; [unrolled: 1-line block ×4, first 2 shown]
	s_and_saveexec_b64 s[10:11], s[8:9]
	s_cbranch_execz .LBB138_5
; %bb.4:                                ;   in Loop: Header=BB138_3 Depth=1
	s_waitcnt lgkmcnt(2)
	v_mov_b64_e32 v[0:1], v[4:5]
	s_waitcnt lgkmcnt(0)
	v_mov_b64_e32 v[2:3], v[6:7]
.LBB138_5:                              ;   in Loop: Header=BB138_3 Depth=1
	s_or_b64 exec, exec, s[10:11]
	s_waitcnt lgkmcnt(3)
	ds_bpermute_b32 v4, v26, v20
	s_waitcnt lgkmcnt(3)
	ds_bpermute_b32 v5, v26, v19
	s_waitcnt lgkmcnt(3)
	ds_bpermute_b32 v6, v26, v32
	s_waitcnt lgkmcnt(3)
	ds_bpermute_b32 v7, v26, v33
	s_and_saveexec_b64 s[10:11], s[4:5]
	s_cbranch_execz .LBB138_7
; %bb.6:                                ;   in Loop: Header=BB138_3 Depth=1
	s_waitcnt lgkmcnt(2)
	v_mov_b64_e32 v[0:1], v[4:5]
	s_waitcnt lgkmcnt(0)
	v_mov_b64_e32 v[2:3], v[6:7]
.LBB138_7:                              ;   in Loop: Header=BB138_3 Depth=1
	s_or_b64 exec, exec, s[10:11]
	s_waitcnt lgkmcnt(3)
	ds_bpermute_b32 v4, v26, v18
	s_waitcnt lgkmcnt(3)
	ds_bpermute_b32 v5, v26, v17
	s_waitcnt lgkmcnt(3)
	ds_bpermute_b32 v6, v26, v30
	s_waitcnt lgkmcnt(3)
	ds_bpermute_b32 v7, v26, v31
	;; [unrolled: 17-line block ×3, first 2 shown]
	s_and_saveexec_b64 s[10:11], vcc
	s_or_b64 exec, exec, s[10:11]
	ds_bpermute_b32 v8, v27, v22
	ds_bpermute_b32 v9, v27, v21
	;; [unrolled: 1-line block ×4, first 2 shown]
	s_and_saveexec_b64 s[10:11], s[8:9]
	s_cbranch_execz .LBB138_11
; %bb.10:                               ;   in Loop: Header=BB138_3 Depth=1
	s_waitcnt lgkmcnt(2)
	v_mov_b64_e32 v[4:5], v[8:9]
	s_waitcnt lgkmcnt(0)
	v_mov_b64_e32 v[6:7], v[10:11]
.LBB138_11:                             ;   in Loop: Header=BB138_3 Depth=1
	s_or_b64 exec, exec, s[10:11]
	s_waitcnt lgkmcnt(3)
	ds_bpermute_b32 v8, v27, v20
	s_waitcnt lgkmcnt(3)
	ds_bpermute_b32 v9, v27, v19
	s_waitcnt lgkmcnt(3)
	ds_bpermute_b32 v10, v27, v32
	s_waitcnt lgkmcnt(3)
	ds_bpermute_b32 v11, v27, v33
	s_and_saveexec_b64 s[10:11], s[4:5]
	s_cbranch_execz .LBB138_13
; %bb.12:                               ;   in Loop: Header=BB138_3 Depth=1
	s_waitcnt lgkmcnt(2)
	v_mov_b64_e32 v[4:5], v[8:9]
	s_waitcnt lgkmcnt(0)
	v_mov_b64_e32 v[6:7], v[10:11]
.LBB138_13:                             ;   in Loop: Header=BB138_3 Depth=1
	s_or_b64 exec, exec, s[10:11]
	s_waitcnt lgkmcnt(3)
	ds_bpermute_b32 v8, v27, v18
	s_waitcnt lgkmcnt(3)
	ds_bpermute_b32 v9, v27, v17
	s_waitcnt lgkmcnt(3)
	ds_bpermute_b32 v10, v27, v30
	s_waitcnt lgkmcnt(3)
	ds_bpermute_b32 v11, v27, v31
	;; [unrolled: 17-line block ×3, first 2 shown]
	s_and_saveexec_b64 s[10:11], vcc
	s_or_b64 exec, exec, s[10:11]
	ds_bpermute_b32 v12, v28, v22
	ds_bpermute_b32 v13, v28, v21
	;; [unrolled: 1-line block ×4, first 2 shown]
	s_and_saveexec_b64 s[10:11], s[8:9]
	s_cbranch_execz .LBB138_17
; %bb.16:                               ;   in Loop: Header=BB138_3 Depth=1
	s_waitcnt lgkmcnt(2)
	v_mov_b64_e32 v[8:9], v[12:13]
	s_waitcnt lgkmcnt(0)
	v_mov_b64_e32 v[10:11], v[14:15]
.LBB138_17:                             ;   in Loop: Header=BB138_3 Depth=1
	s_or_b64 exec, exec, s[10:11]
	s_waitcnt lgkmcnt(3)
	ds_bpermute_b32 v12, v28, v20
	s_waitcnt lgkmcnt(3)
	ds_bpermute_b32 v13, v28, v19
	s_waitcnt lgkmcnt(3)
	ds_bpermute_b32 v14, v28, v32
	s_waitcnt lgkmcnt(3)
	ds_bpermute_b32 v15, v28, v33
	s_and_saveexec_b64 s[10:11], s[4:5]
	s_cbranch_execz .LBB138_19
; %bb.18:                               ;   in Loop: Header=BB138_3 Depth=1
	s_waitcnt lgkmcnt(2)
	v_mov_b64_e32 v[8:9], v[12:13]
	s_waitcnt lgkmcnt(0)
	v_mov_b64_e32 v[10:11], v[14:15]
.LBB138_19:                             ;   in Loop: Header=BB138_3 Depth=1
	s_or_b64 exec, exec, s[10:11]
	s_waitcnt lgkmcnt(3)
	ds_bpermute_b32 v12, v28, v18
	s_waitcnt lgkmcnt(3)
	ds_bpermute_b32 v13, v28, v17
	s_waitcnt lgkmcnt(3)
	ds_bpermute_b32 v14, v28, v30
	s_waitcnt lgkmcnt(3)
	ds_bpermute_b32 v15, v28, v31
	;; [unrolled: 17-line block ×3, first 2 shown]
	s_and_saveexec_b64 s[10:11], vcc
	s_or_b64 exec, exec, s[10:11]
	ds_bpermute_b32 v22, v29, v22
	ds_bpermute_b32 v23, v29, v21
	;; [unrolled: 1-line block ×4, first 2 shown]
	s_and_saveexec_b64 s[10:11], s[8:9]
	s_cbranch_execz .LBB138_23
; %bb.22:                               ;   in Loop: Header=BB138_3 Depth=1
	s_waitcnt lgkmcnt(2)
	v_mov_b64_e32 v[12:13], v[22:23]
	s_waitcnt lgkmcnt(0)
	v_mov_b64_e32 v[14:15], v[24:25]
.LBB138_23:                             ;   in Loop: Header=BB138_3 Depth=1
	s_or_b64 exec, exec, s[10:11]
	ds_bpermute_b32 v20, v29, v20
	ds_bpermute_b32 v21, v29, v19
	s_waitcnt lgkmcnt(5)
	ds_bpermute_b32 v22, v29, v32
	s_waitcnt lgkmcnt(5)
	ds_bpermute_b32 v23, v29, v33
	s_and_saveexec_b64 s[10:11], s[4:5]
	s_cbranch_execz .LBB138_25
; %bb.24:                               ;   in Loop: Header=BB138_3 Depth=1
	s_waitcnt lgkmcnt(2)
	v_mov_b64_e32 v[12:13], v[20:21]
	s_waitcnt lgkmcnt(0)
	v_mov_b64_e32 v[14:15], v[22:23]
.LBB138_25:                             ;   in Loop: Header=BB138_3 Depth=1
	s_or_b64 exec, exec, s[10:11]
	ds_bpermute_b32 v18, v29, v18
	ds_bpermute_b32 v19, v29, v17
	s_waitcnt lgkmcnt(5)
	ds_bpermute_b32 v20, v29, v30
	s_waitcnt lgkmcnt(5)
	ds_bpermute_b32 v21, v29, v31
	s_and_saveexec_b64 s[10:11], s[6:7]
	s_cbranch_execz .LBB138_2
; %bb.26:                               ;   in Loop: Header=BB138_3 Depth=1
	s_waitcnt lgkmcnt(2)
	v_mov_b64_e32 v[12:13], v[18:19]
	s_waitcnt lgkmcnt(0)
	v_mov_b64_e32 v[14:15], v[20:21]
	s_branch .LBB138_2
.LBB138_27:
	v_mov_b64_e32 v[2:3], 0
	v_mov_b32_e32 v23, v17
	v_mov_b32_e32 v21, v17
	;; [unrolled: 1-line block ×3, first 2 shown]
	v_mov_b64_e32 v[14:15], 0
	v_mov_b64_e32 v[0:1], v[16:17]
	;; [unrolled: 1-line block ×7, first 2 shown]
.LBB138_28:
	s_load_dwordx2 s[0:1], s[0:1], 0x0
	v_lshl_or_b32 v16, s2, 10, v16
	v_mov_b32_e32 v17, 0
	s_waitcnt lgkmcnt(0)
	v_lshl_add_u64 v[16:17], v[16:17], 4, s[0:1]
	global_store_dwordx4 v[16:17], v[0:3], off
	global_store_dwordx4 v[16:17], v[4:7], off offset:16
	global_store_dwordx4 v[16:17], v[8:11], off offset:32
	;; [unrolled: 1-line block ×3, first 2 shown]
	s_endpgm
	.section	.rodata,"a",@progbits
	.p2align	6, 0x0
	.amdhsa_kernel _Z20warp_exchange_kernelILj256ELj4ELj64EN6common25StripedToBlockedShuffleOpEoEvPT3_j
		.amdhsa_group_segment_fixed_size 0
		.amdhsa_private_segment_fixed_size 0
		.amdhsa_kernarg_size 12
		.amdhsa_user_sgpr_count 2
		.amdhsa_user_sgpr_dispatch_ptr 0
		.amdhsa_user_sgpr_queue_ptr 0
		.amdhsa_user_sgpr_kernarg_segment_ptr 1
		.amdhsa_user_sgpr_dispatch_id 0
		.amdhsa_user_sgpr_kernarg_preload_length 0
		.amdhsa_user_sgpr_kernarg_preload_offset 0
		.amdhsa_user_sgpr_private_segment_size 0
		.amdhsa_uses_dynamic_stack 0
		.amdhsa_enable_private_segment 0
		.amdhsa_system_sgpr_workgroup_id_x 1
		.amdhsa_system_sgpr_workgroup_id_y 0
		.amdhsa_system_sgpr_workgroup_id_z 0
		.amdhsa_system_sgpr_workgroup_info 0
		.amdhsa_system_vgpr_workitem_id 0
		.amdhsa_next_free_vgpr 37
		.amdhsa_next_free_sgpr 12
		.amdhsa_accum_offset 40
		.amdhsa_reserve_vcc 1
		.amdhsa_float_round_mode_32 0
		.amdhsa_float_round_mode_16_64 0
		.amdhsa_float_denorm_mode_32 3
		.amdhsa_float_denorm_mode_16_64 3
		.amdhsa_dx10_clamp 1
		.amdhsa_ieee_mode 1
		.amdhsa_fp16_overflow 0
		.amdhsa_tg_split 0
		.amdhsa_exception_fp_ieee_invalid_op 0
		.amdhsa_exception_fp_denorm_src 0
		.amdhsa_exception_fp_ieee_div_zero 0
		.amdhsa_exception_fp_ieee_overflow 0
		.amdhsa_exception_fp_ieee_underflow 0
		.amdhsa_exception_fp_ieee_inexact 0
		.amdhsa_exception_int_div_zero 0
	.end_amdhsa_kernel
	.section	.text._Z20warp_exchange_kernelILj256ELj4ELj64EN6common25StripedToBlockedShuffleOpEoEvPT3_j,"axG",@progbits,_Z20warp_exchange_kernelILj256ELj4ELj64EN6common25StripedToBlockedShuffleOpEoEvPT3_j,comdat
.Lfunc_end138:
	.size	_Z20warp_exchange_kernelILj256ELj4ELj64EN6common25StripedToBlockedShuffleOpEoEvPT3_j, .Lfunc_end138-_Z20warp_exchange_kernelILj256ELj4ELj64EN6common25StripedToBlockedShuffleOpEoEvPT3_j
                                        ; -- End function
	.section	.AMDGPU.csdata,"",@progbits
; Kernel info:
; codeLenInByte = 1416
; NumSgprs: 18
; NumVgprs: 37
; NumAgprs: 0
; TotalNumVgprs: 37
; ScratchSize: 0
; MemoryBound: 0
; FloatMode: 240
; IeeeMode: 1
; LDSByteSize: 0 bytes/workgroup (compile time only)
; SGPRBlocks: 2
; VGPRBlocks: 4
; NumSGPRsForWavesPerEU: 18
; NumVGPRsForWavesPerEU: 37
; AccumOffset: 40
; Occupancy: 8
; WaveLimiterHint : 0
; COMPUTE_PGM_RSRC2:SCRATCH_EN: 0
; COMPUTE_PGM_RSRC2:USER_SGPR: 2
; COMPUTE_PGM_RSRC2:TRAP_HANDLER: 0
; COMPUTE_PGM_RSRC2:TGID_X_EN: 1
; COMPUTE_PGM_RSRC2:TGID_Y_EN: 0
; COMPUTE_PGM_RSRC2:TGID_Z_EN: 0
; COMPUTE_PGM_RSRC2:TIDIG_COMP_CNT: 0
; COMPUTE_PGM_RSRC3_GFX90A:ACCUM_OFFSET: 9
; COMPUTE_PGM_RSRC3_GFX90A:TG_SPLIT: 0
	.section	.text._Z20warp_exchange_kernelILj256ELj16ELj64EN6common25StripedToBlockedShuffleOpEoEvPT3_j,"axG",@progbits,_Z20warp_exchange_kernelILj256ELj16ELj64EN6common25StripedToBlockedShuffleOpEoEvPT3_j,comdat
	.protected	_Z20warp_exchange_kernelILj256ELj16ELj64EN6common25StripedToBlockedShuffleOpEoEvPT3_j ; -- Begin function _Z20warp_exchange_kernelILj256ELj16ELj64EN6common25StripedToBlockedShuffleOpEoEvPT3_j
	.globl	_Z20warp_exchange_kernelILj256ELj16ELj64EN6common25StripedToBlockedShuffleOpEoEvPT3_j
	.p2align	8
	.type	_Z20warp_exchange_kernelILj256ELj16ELj64EN6common25StripedToBlockedShuffleOpEoEvPT3_j,@function
_Z20warp_exchange_kernelILj256ELj16ELj64EN6common25StripedToBlockedShuffleOpEoEvPT3_j: ; @_Z20warp_exchange_kernelILj256ELj16ELj64EN6common25StripedToBlockedShuffleOpEoEvPT3_j
; %bb.0:
	s_load_dword s3, s[0:1], 0x8
	v_lshlrev_b32_e32 v64, 4, v0
	v_or_b32_e32 v56, 1, v64
	v_or_b32_e32 v52, 2, v64
	;; [unrolled: 1-line block ×14, first 2 shown]
	s_waitcnt lgkmcnt(0)
	s_cmp_eq_u32 s3, 0
	v_or_b32_e32 v4, 15, v64
	s_cbranch_scc1 .LBB139_3
; %bb.1:
	v_mbcnt_lo_u32_b32 v2, -1, 0
	v_mbcnt_hi_u32_b32 v2, -1, v2
	v_and_b32_e32 v3, 64, v2
	v_add_u32_e32 v10, 60, v2
	v_and_or_b32 v10, v10, 63, v3
	v_lshlrev_b32_e32 v66, 2, v10
	v_add_u32_e32 v10, 56, v2
	v_and_or_b32 v10, v10, 63, v3
	v_lshlrev_b32_e32 v67, 2, v10
	;; [unrolled: 3-line block ×7, first 2 shown]
	v_lshlrev_b32_e32 v10, 2, v2
	v_xor_b32_e32 v73, 0x80, v10
	v_add_u32_e32 v10, 28, v2
	v_and_or_b32 v10, v10, 63, v3
	v_lshlrev_b32_e32 v74, 2, v10
	v_add_u32_e32 v10, 24, v2
	v_and_or_b32 v10, v10, 63, v3
	v_lshlrev_b32_e32 v75, 2, v10
	;; [unrolled: 3-line block ×7, first 2 shown]
	v_lshrrev_b32_e32 v3, 2, v2
	v_add_u32_e32 v14, -1, v3
	v_mov_b32_e32 v11, 0
	v_and_b32_e32 v14, 15, v14
	v_lshl_add_u32 v82, v14, 4, v11
	v_add_u32_e32 v14, 14, v3
	v_and_b32_e32 v14, 15, v14
	v_lshl_add_u32 v83, v14, 4, v11
	v_add_u32_e32 v14, 13, v3
	;; [unrolled: 3-line block ×5, first 2 shown]
	v_add_u32_e32 v3, 9, v3
	v_bfe_u32 v10, v2, 2, 4
	v_and_b32_e32 v3, 15, v3
	v_lshl_add_u32 v88, v3, 4, v11
	v_xor_b32_e32 v3, 8, v10
	v_lshl_add_u32 v81, v10, 4, v11
	v_add_u32_e32 v10, -1, v3
	v_and_b32_e32 v10, 15, v10
	v_lshl_add_u32 v90, v10, 4, v11
	v_add_u32_e32 v10, 14, v3
	v_and_b32_e32 v10, 15, v10
	v_lshl_add_u32 v91, v10, 4, v11
	v_add_u32_e32 v10, 13, v3
	;; [unrolled: 3-line block ×4, first 2 shown]
	v_and_b32_e32 v10, 15, v10
	v_lshl_add_u32 v89, v3, 4, v11
	v_lshl_add_u32 v94, v10, 4, v11
	v_add_u32_e32 v10, 10, v3
	v_add_u32_e32 v3, 9, v3
	v_and_b32_e32 v3, 15, v3
	v_and_b32_e32 v10, 15, v10
	v_lshl_add_u32 v96, v3, 4, v11
	v_and_b32_e32 v3, 3, v2
	v_add_u32_e32 v2, -1, v2
	v_lshl_add_u32 v95, v10, 4, v11
	v_mov_b32_e32 v10, 0x100
	v_and_b32_e32 v2, 3, v2
	v_lshl_add_u32 v98, v2, 4, v10
	v_xor_b32_e32 v2, 2, v3
	v_lshl_add_u32 v99, v2, 4, v10
	v_add_u32_e32 v2, 3, v2
	v_mov_b32_e32 v5, 0
	v_lshl_add_u32 v97, v3, 4, v10
	v_and_b32_e32 v3, 3, v2
	v_lshlrev_b32_e32 v2, 4, v2
	v_mov_b64_e32 v[6:7], 0
	v_mov_b32_e32 v65, v5
	v_and_b32_e32 v14, 15, v14
	v_lshl_add_u32 v100, v3, 4, v10
	v_or_b32_e32 v3, 64, v2
	v_or_b32_e32 v2, 0xc0, v2
	v_mov_b32_e32 v9, v5
	v_mov_b32_e32 v13, v5
	;; [unrolled: 1-line block ×6, first 2 shown]
	v_lshl_add_u32 v87, v14, 4, v11
	v_add_u32_e32 v101, 0x100, v3
	v_add_u32_e32 v102, 0x100, v2
	v_mov_b64_e32 v[10:11], v[6:7]
	v_mov_b64_e32 v[14:15], v[6:7]
	;; [unrolled: 1-line block ×6, first 2 shown]
	v_mov_b32_e32 v17, v5
	v_mov_b64_e32 v[18:19], v[6:7]
	v_mov_b32_e32 v37, v5
	v_mov_b64_e32 v[38:39], v[6:7]
	;; [unrolled: 2-line block ×8, first 2 shown]
	v_mov_b64_e32 v[62:63], 0
	v_mov_b64_e32 v[60:61], v[64:65]
.LBB139_2:                              ; =>This Inner Loop Header: Depth=1
	s_waitcnt vmcnt(8)
	scratch_store_dwordx4 off, v[60:63], off
	scratch_store_dwordx4 off, v[56:59], off offset:16
	scratch_store_dwordx4 off, v[52:55], off offset:32
	scratch_store_dwordx4 off, v[48:51], off offset:48
	s_waitcnt vmcnt(11)
	scratch_store_dwordx4 off, v[32:35], off offset:64
	scratch_store_dwordx4 off, v[44:47], off offset:80
	scratch_store_dwordx4 off, v[40:43], off offset:96
	scratch_store_dwordx4 off, v[36:39], off offset:112
	s_waitcnt vmcnt(14)
	scratch_store_dwordx4 off, v[16:19], off offset:128
	;; [unrolled: 5-line block ×3, first 2 shown]
	scratch_store_dwordx4 off, v[12:15], off offset:208
	scratch_store_dwordx4 off, v[8:11], off offset:224
	;; [unrolled: 1-line block ×3, first 2 shown]
	ds_bpermute_b32 v56, v66, v56
	ds_bpermute_b32 v57, v66, v57
	;; [unrolled: 1-line block ×60, first 2 shown]
	scratch_store_dwordx4 v81, v[60:63], off
	s_waitcnt lgkmcnt(14)
	scratch_store_dwordx4 v82, v[56:59], off
	scratch_store_dwordx4 v83, v[52:55], off
	scratch_store_dwordx4 v84, v[48:51], off
	scratch_store_dwordx4 v85, v[32:35], off
	scratch_store_dwordx4 v86, v[44:47], off
	scratch_store_dwordx4 v87, v[40:43], off
	scratch_store_dwordx4 v88, v[36:39], off
	scratch_store_dwordx4 v89, v[16:19], off
	scratch_store_dwordx4 v90, v[28:31], off
	scratch_store_dwordx4 v91, v[24:27], off
	scratch_store_dwordx4 v92, v[20:23], off
	s_waitcnt lgkmcnt(12)
	scratch_store_dwordx4 v93, v[0:3], off
	s_waitcnt lgkmcnt(8)
	scratch_store_dwordx4 v94, v[12:15], off
	;; [unrolled: 2-line block ×4, first 2 shown]
	scratch_load_dwordx4 v[0:3], off, off offset:16
	s_nop 0
	scratch_load_dwordx4 v[4:7], off, off offset:32
	scratch_load_dwordx4 v[8:11], off, off offset:48
	;; [unrolled: 1-line block ×14, first 2 shown]
	scratch_load_dwordx4 v[116:119], off, off
	s_add_i32 s3, s3, -1
	s_cmp_lg_u32 s3, 0
	s_waitcnt vmcnt(15)
	ds_bpermute_b32 v34, v80, v2
	ds_bpermute_b32 v35, v80, v3
	s_waitcnt vmcnt(14)
	ds_bpermute_b32 v2, v79, v6
	s_waitcnt vmcnt(12)
	ds_bpermute_b32 v28, v77, v12
	ds_bpermute_b32 v29, v77, v13
	ds_bpermute_b32 v30, v77, v14
	ds_bpermute_b32 v31, v77, v15
	s_waitcnt vmcnt(8)
	ds_bpermute_b32 v44, v70, v44
	ds_bpermute_b32 v45, v70, v45
	ds_bpermute_b32 v46, v70, v46
	;; [unrolled: 5-line block ×3, first 2 shown]
	ds_bpermute_b32 v15, v73, v51
	s_waitcnt lgkmcnt(4)
	scratch_store_dwordx4 off, v[44:47], off offset:176
	scratch_load_dwordx2 v[132:133], off, off offset:184
	ds_bpermute_b32 v3, v79, v7
	ds_bpermute_b32 v6, v75, v26
	;; [unrolled: 1-line block ×3, first 2 shown]
	s_waitcnt vmcnt(7)
	ds_bpermute_b32 v26, v71, v58
	ds_bpermute_b32 v27, v71, v59
	s_waitcnt vmcnt(6)
	ds_bpermute_b32 v58, v69, v60
	ds_bpermute_b32 v59, v69, v61
	ds_bpermute_b32 v60, v69, v62
	ds_bpermute_b32 v61, v69, v63
	ds_bpermute_b32 v32, v80, v0
	ds_bpermute_b32 v33, v80, v1
	ds_bpermute_b32 v36, v76, v20
	ds_bpermute_b32 v37, v76, v21
	ds_bpermute_b32 v38, v76, v22
	ds_bpermute_b32 v39, v76, v23
	ds_bpermute_b32 v20, v72, v52
	ds_bpermute_b32 v21, v72, v53
	ds_bpermute_b32 v22, v72, v54
	ds_bpermute_b32 v23, v72, v55
	s_waitcnt vmcnt(5)
	ds_bpermute_b32 v62, v68, v104
	ds_bpermute_b32 v63, v68, v105
	;; [unrolled: 1-line block ×10, first 2 shown]
	s_waitcnt vmcnt(4)
	ds_bpermute_b32 v120, v67, v108
	ds_bpermute_b32 v121, v67, v109
	ds_bpermute_b32 v122, v67, v110
	ds_bpermute_b32 v16, v78, v8
	ds_bpermute_b32 v17, v78, v9
	ds_bpermute_b32 v18, v78, v10
	ds_bpermute_b32 v19, v78, v11
	ds_bpermute_b32 v8, v74, v40
	ds_bpermute_b32 v9, v74, v41
	ds_bpermute_b32 v10, v74, v42
	ds_bpermute_b32 v11, v74, v43
	ds_bpermute_b32 v128, v67, v111
	v_mov_b32_dpp v40, v28 quad_perm:[3,0,1,2] row_mask:0xf bank_mask:0xf
	v_mov_b32_dpp v41, v29 quad_perm:[3,0,1,2] row_mask:0xf bank_mask:0xf
	;; [unrolled: 1-line block ×4, first 2 shown]
	s_waitcnt lgkmcnt(14)
	v_mov_b32_dpp v104, v12 quad_perm:[2,3,0,1] row_mask:0xf bank_mask:0xf
	v_mov_b32_dpp v105, v13 quad_perm:[2,3,0,1] row_mask:0xf bank_mask:0xf
	v_mov_b32_dpp v106, v14 quad_perm:[2,3,0,1] row_mask:0xf bank_mask:0xf
	v_mov_b32_dpp v107, v15 quad_perm:[2,3,0,1] row_mask:0xf bank_mask:0xf
	s_waitcnt vmcnt(3)
	ds_bpermute_b32 v134, v66, v112
	ds_bpermute_b32 v135, v66, v113
	v_mov_b32_dpp v58, v58 quad_perm:[1,2,3,0] row_mask:0xf bank_mask:0xf
	v_mov_b32_dpp v59, v59 quad_perm:[1,2,3,0] row_mask:0xf bank_mask:0xf
	;; [unrolled: 1-line block ×3, first 2 shown]
	s_waitcnt vmcnt(2)
	scratch_store_dwordx4 v97, v[116:119], off
	scratch_store_dwordx4 v98, v[40:43], off
	v_mov_b32_dpp v61, v61 quad_perm:[1,2,3,0] row_mask:0xf bank_mask:0xf
	scratch_store_dwordx4 v99, v[104:107], off
	scratch_store_dwordx4 v100, v[58:61], off
	ds_bpermute_b32 v136, v66, v114
	ds_bpermute_b32 v140, v66, v115
	v_mov_b32_dpp v46, v36 quad_perm:[3,0,1,2] row_mask:0xf bank_mask:0xf
	v_mov_b32_dpp v47, v37 quad_perm:[3,0,1,2] row_mask:0xf bank_mask:0xf
	;; [unrolled: 1-line block ×8, first 2 shown]
	scratch_load_dwordx4 v[104:107], off, off offset:272
	scratch_load_dwordx4 v[112:115], off, off offset:288
	s_nop 0
	scratch_store_dwordx4 v97, v[32:35], off offset:64
	scratch_store_dwordx4 v98, v[46:49], off offset:64
	v_mov_b32_dpp v58, v62 quad_perm:[1,2,3,0] row_mask:0xf bank_mask:0xf
	v_mov_b32_dpp v59, v63 quad_perm:[1,2,3,0] row_mask:0xf bank_mask:0xf
	;; [unrolled: 1-line block ×3, first 2 shown]
	scratch_load_dwordx4 v[116:119], off, off offset:304
	v_mov_b32_dpp v61, v103 quad_perm:[1,2,3,0] row_mask:0xf bank_mask:0xf
	scratch_store_dwordx4 v99, v[108:111], off offset:64
	scratch_store_dwordx4 v101, v[58:61], off
	v_mov_b32_dpp v50, v4 quad_perm:[3,0,1,2] row_mask:0xf bank_mask:0xf
	v_mov_b32_dpp v51, v5 quad_perm:[3,0,1,2] row_mask:0xf bank_mask:0xf
	v_mov_b32_dpp v52, v6 quad_perm:[3,0,1,2] row_mask:0xf bank_mask:0xf
	v_mov_b32_dpp v53, v7 quad_perm:[3,0,1,2] row_mask:0xf bank_mask:0xf
	s_waitcnt lgkmcnt(14)
	v_mov_b32_dpp v40, v24 quad_perm:[2,3,0,1] row_mask:0xf bank_mask:0xf
	v_mov_b32_dpp v41, v25 quad_perm:[2,3,0,1] row_mask:0xf bank_mask:0xf
	;; [unrolled: 1-line block ×4, first 2 shown]
	scratch_load_dwordx4 v[108:111], off, off offset:336
	v_mov_b32_dpp v58, v120 quad_perm:[1,2,3,0] row_mask:0xf bank_mask:0xf
	v_mov_b32_dpp v59, v121 quad_perm:[1,2,3,0] row_mask:0xf bank_mask:0xf
	s_waitcnt lgkmcnt(13)
	v_mov_b32_dpp v60, v122 quad_perm:[1,2,3,0] row_mask:0xf bank_mask:0xf
	scratch_load_dwordx4 v[120:123], off, off offset:352
	s_nop 0
	scratch_store_dwordx4 v97, v[0:3], off offset:128
	scratch_store_dwordx4 v98, v[50:53], off offset:128
	scratch_load_dwordx4 v[124:127], off, off offset:368
	s_waitcnt lgkmcnt(4)
	v_mov_b32_dpp v61, v128 quad_perm:[1,2,3,0] row_mask:0xf bank_mask:0xf
	scratch_store_dwordx4 v99, v[40:43], off offset:128
	scratch_store_dwordx4 v100, v[58:61], off offset:128
	v_mov_b32_dpp v54, v8 quad_perm:[3,0,1,2] row_mask:0xf bank_mask:0xf
	v_mov_b32_dpp v55, v9 quad_perm:[3,0,1,2] row_mask:0xf bank_mask:0xf
	;; [unrolled: 1-line block ×6, first 2 shown]
	s_waitcnt vmcnt(18)
	v_mov_b32_dpp v46, v132 quad_perm:[2,3,0,1] row_mask:0xf bank_mask:0xf
	scratch_load_dwordx4 v[128:131], off, off offset:400
	v_mov_b32_dpp v47, v133 quad_perm:[2,3,0,1] row_mask:0xf bank_mask:0xf
	s_waitcnt lgkmcnt(3)
	v_mov_b32_dpp v40, v134 quad_perm:[1,2,3,0] row_mask:0xf bank_mask:0xf
	s_waitcnt lgkmcnt(2)
	v_mov_b32_dpp v41, v135 quad_perm:[1,2,3,0] row_mask:0xf bank_mask:0xf
	scratch_load_dwordx4 v[132:135], off, off offset:416
	s_nop 0
	scratch_store_dwordx4 v97, v[16:19], off offset:192
	scratch_store_dwordx4 v98, v[54:57], off offset:192
	s_waitcnt lgkmcnt(1)
	v_mov_b32_dpp v42, v136 quad_perm:[1,2,3,0] row_mask:0xf bank_mask:0xf
	scratch_load_dwordx4 v[136:139], off, off offset:432
	s_waitcnt lgkmcnt(0)
	v_mov_b32_dpp v43, v140 quad_perm:[1,2,3,0] row_mask:0xf bank_mask:0xf
	scratch_store_dwordx4 v99, v[44:47], off offset:192
	scratch_store_dwordx4 v102, v[40:43], off
	scratch_load_dwordx4 v[140:143], off, off offset:464
	scratch_load_dwordx4 v[144:147], off, off offset:480
	scratch_load_dwordx4 v[148:151], off, off offset:496
	s_waitcnt vmcnt(23)
	v_mov_b32_dpp v56, v104 quad_perm:[1,2,3,0] row_mask:0xf bank_mask:0xf
	scratch_store_dwordx4 off, v[32:35], off offset:16
	scratch_store_dwordx4 off, v[0:3], off offset:32
	;; [unrolled: 1-line block ×5, first 2 shown]
	scratch_load_dwordx4 v[60:63], off, off offset:256
	scratch_load_dwordx4 v[32:35], off, off offset:320
	s_nop 0
	scratch_load_dwordx4 v[16:19], off, off offset:384
	scratch_load_dwordx4 v[0:3], off, off offset:448
	s_nop 0
	scratch_store_dwordx4 off, v[4:7], off offset:96
	scratch_store_dwordx4 off, v[8:11], off offset:112
	;; [unrolled: 1-line block ×5, first 2 shown]
	v_mov_b32_dpp v57, v105 quad_perm:[1,2,3,0] row_mask:0xf bank_mask:0xf
	v_mov_b32_dpp v58, v106 quad_perm:[1,2,3,0] row_mask:0xf bank_mask:0xf
	v_mov_b32_dpp v59, v107 quad_perm:[1,2,3,0] row_mask:0xf bank_mask:0xf
	s_waitcnt vmcnt(36)
	v_mov_b32_dpp v52, v112 quad_perm:[2,3,0,1] row_mask:0xf bank_mask:0xf
	v_mov_b32_dpp v53, v113 quad_perm:[2,3,0,1] row_mask:0xf bank_mask:0xf
	v_mov_b32_dpp v54, v114 quad_perm:[2,3,0,1] row_mask:0xf bank_mask:0xf
	v_mov_b32_dpp v55, v115 quad_perm:[2,3,0,1] row_mask:0xf bank_mask:0xf
	s_waitcnt vmcnt(33)
	v_mov_b32_dpp v48, v116 quad_perm:[3,0,1,2] row_mask:0xf bank_mask:0xf
	;; [unrolled: 5-line block ×5, first 2 shown]
	v_mov_b32_dpp v37, v125 quad_perm:[3,0,1,2] row_mask:0xf bank_mask:0xf
	v_mov_b32_dpp v38, v126 quad_perm:[3,0,1,2] row_mask:0xf bank_mask:0xf
	;; [unrolled: 1-line block ×3, first 2 shown]
	; wave barrier
	s_waitcnt vmcnt(23)
	v_mov_b32_dpp v28, v128 quad_perm:[1,2,3,0] row_mask:0xf bank_mask:0xf
	v_mov_b32_dpp v29, v129 quad_perm:[1,2,3,0] row_mask:0xf bank_mask:0xf
	v_mov_b32_dpp v30, v130 quad_perm:[1,2,3,0] row_mask:0xf bank_mask:0xf
	v_mov_b32_dpp v31, v131 quad_perm:[1,2,3,0] row_mask:0xf bank_mask:0xf
	s_waitcnt vmcnt(22)
	v_mov_b32_dpp v24, v132 quad_perm:[2,3,0,1] row_mask:0xf bank_mask:0xf
	v_mov_b32_dpp v25, v133 quad_perm:[2,3,0,1] row_mask:0xf bank_mask:0xf
	v_mov_b32_dpp v26, v134 quad_perm:[2,3,0,1] row_mask:0xf bank_mask:0xf
	v_mov_b32_dpp v27, v135 quad_perm:[2,3,0,1] row_mask:0xf bank_mask:0xf
	s_waitcnt vmcnt(19)
	v_mov_b32_dpp v20, v136 quad_perm:[3,0,1,2] row_mask:0xf bank_mask:0xf
	v_mov_b32_dpp v21, v137 quad_perm:[3,0,1,2] row_mask:0xf bank_mask:0xf
	v_mov_b32_dpp v22, v138 quad_perm:[3,0,1,2] row_mask:0xf bank_mask:0xf
	v_mov_b32_dpp v23, v139 quad_perm:[3,0,1,2] row_mask:0xf bank_mask:0xf
	s_waitcnt vmcnt(16)
	v_mov_b32_dpp v12, v140 quad_perm:[1,2,3,0] row_mask:0xf bank_mask:0xf
	v_mov_b32_dpp v13, v141 quad_perm:[1,2,3,0] row_mask:0xf bank_mask:0xf
	v_mov_b32_dpp v14, v142 quad_perm:[1,2,3,0] row_mask:0xf bank_mask:0xf
	v_mov_b32_dpp v15, v143 quad_perm:[1,2,3,0] row_mask:0xf bank_mask:0xf
	s_waitcnt vmcnt(15)
	v_mov_b32_dpp v8, v144 quad_perm:[2,3,0,1] row_mask:0xf bank_mask:0xf
	v_mov_b32_dpp v9, v145 quad_perm:[2,3,0,1] row_mask:0xf bank_mask:0xf
	v_mov_b32_dpp v10, v146 quad_perm:[2,3,0,1] row_mask:0xf bank_mask:0xf
	v_mov_b32_dpp v11, v147 quad_perm:[2,3,0,1] row_mask:0xf bank_mask:0xf
	s_waitcnt vmcnt(14)
	v_mov_b32_dpp v4, v148 quad_perm:[3,0,1,2] row_mask:0xf bank_mask:0xf
	v_mov_b32_dpp v5, v149 quad_perm:[3,0,1,2] row_mask:0xf bank_mask:0xf
	v_mov_b32_dpp v6, v150 quad_perm:[3,0,1,2] row_mask:0xf bank_mask:0xf
	v_mov_b32_dpp v7, v151 quad_perm:[3,0,1,2] row_mask:0xf bank_mask:0xf
	s_cbranch_scc1 .LBB139_2
	s_branch .LBB139_4
.LBB139_3:
	v_mov_b32_e32 v65, 0
	v_mov_b64_e32 v[62:63], 0
	v_mov_b64_e32 v[6:7], 0
	v_mov_b32_e32 v57, v65
	v_mov_b32_e32 v53, v65
	;; [unrolled: 1-line block ×13, first 2 shown]
	v_mov_b64_e32 v[60:61], v[64:65]
	v_mov_b64_e32 v[58:59], v[62:63]
	;; [unrolled: 1-line block ×13, first 2 shown]
	v_mov_b32_e32 v13, v65
	v_mov_b64_e32 v[14:15], v[62:63]
	v_mov_b32_e32 v9, v65
	v_mov_b64_e32 v[10:11], v[62:63]
.LBB139_4:
	s_load_dwordx2 s[0:1], s[0:1], 0x0
	v_lshl_or_b32 v64, s2, 12, v64
	v_mov_b32_e32 v65, 0
	s_waitcnt lgkmcnt(0)
	v_lshl_add_u64 v[64:65], v[64:65], 4, s[0:1]
	s_waitcnt vmcnt(8)
	global_store_dwordx4 v[64:65], v[60:63], off
	global_store_dwordx4 v[64:65], v[56:59], off offset:16
	global_store_dwordx4 v[64:65], v[52:55], off offset:32
	global_store_dwordx4 v[64:65], v[48:51], off offset:48
	s_waitcnt vmcnt(11)
	global_store_dwordx4 v[64:65], v[32:35], off offset:64
	global_store_dwordx4 v[64:65], v[44:47], off offset:80
	global_store_dwordx4 v[64:65], v[40:43], off offset:96
	global_store_dwordx4 v[64:65], v[36:39], off offset:112
	s_waitcnt vmcnt(14)
	global_store_dwordx4 v[64:65], v[16:19], off offset:128
	;; [unrolled: 5-line block ×3, first 2 shown]
	global_store_dwordx4 v[64:65], v[12:15], off offset:208
	global_store_dwordx4 v[64:65], v[8:11], off offset:224
	;; [unrolled: 1-line block ×3, first 2 shown]
	s_endpgm
	.section	.rodata,"a",@progbits
	.p2align	6, 0x0
	.amdhsa_kernel _Z20warp_exchange_kernelILj256ELj16ELj64EN6common25StripedToBlockedShuffleOpEoEvPT3_j
		.amdhsa_group_segment_fixed_size 0
		.amdhsa_private_segment_fixed_size 528
		.amdhsa_kernarg_size 12
		.amdhsa_user_sgpr_count 2
		.amdhsa_user_sgpr_dispatch_ptr 0
		.amdhsa_user_sgpr_queue_ptr 0
		.amdhsa_user_sgpr_kernarg_segment_ptr 1
		.amdhsa_user_sgpr_dispatch_id 0
		.amdhsa_user_sgpr_kernarg_preload_length 0
		.amdhsa_user_sgpr_kernarg_preload_offset 0
		.amdhsa_user_sgpr_private_segment_size 0
		.amdhsa_uses_dynamic_stack 0
		.amdhsa_enable_private_segment 1
		.amdhsa_system_sgpr_workgroup_id_x 1
		.amdhsa_system_sgpr_workgroup_id_y 0
		.amdhsa_system_sgpr_workgroup_id_z 0
		.amdhsa_system_sgpr_workgroup_info 0
		.amdhsa_system_vgpr_workitem_id 0
		.amdhsa_next_free_vgpr 152
		.amdhsa_next_free_sgpr 4
		.amdhsa_accum_offset 152
		.amdhsa_reserve_vcc 0
		.amdhsa_float_round_mode_32 0
		.amdhsa_float_round_mode_16_64 0
		.amdhsa_float_denorm_mode_32 3
		.amdhsa_float_denorm_mode_16_64 3
		.amdhsa_dx10_clamp 1
		.amdhsa_ieee_mode 1
		.amdhsa_fp16_overflow 0
		.amdhsa_tg_split 0
		.amdhsa_exception_fp_ieee_invalid_op 0
		.amdhsa_exception_fp_denorm_src 0
		.amdhsa_exception_fp_ieee_div_zero 0
		.amdhsa_exception_fp_ieee_overflow 0
		.amdhsa_exception_fp_ieee_underflow 0
		.amdhsa_exception_fp_ieee_inexact 0
		.amdhsa_exception_int_div_zero 0
	.end_amdhsa_kernel
	.section	.text._Z20warp_exchange_kernelILj256ELj16ELj64EN6common25StripedToBlockedShuffleOpEoEvPT3_j,"axG",@progbits,_Z20warp_exchange_kernelILj256ELj16ELj64EN6common25StripedToBlockedShuffleOpEoEvPT3_j,comdat
.Lfunc_end139:
	.size	_Z20warp_exchange_kernelILj256ELj16ELj64EN6common25StripedToBlockedShuffleOpEoEvPT3_j, .Lfunc_end139-_Z20warp_exchange_kernelILj256ELj16ELj64EN6common25StripedToBlockedShuffleOpEoEvPT3_j
                                        ; -- End function
	.section	.AMDGPU.csdata,"",@progbits
; Kernel info:
; codeLenInByte = 3812
; NumSgprs: 10
; NumVgprs: 152
; NumAgprs: 0
; TotalNumVgprs: 152
; ScratchSize: 528
; MemoryBound: 0
; FloatMode: 240
; IeeeMode: 1
; LDSByteSize: 0 bytes/workgroup (compile time only)
; SGPRBlocks: 1
; VGPRBlocks: 18
; NumSGPRsForWavesPerEU: 10
; NumVGPRsForWavesPerEU: 152
; AccumOffset: 152
; Occupancy: 3
; WaveLimiterHint : 1
; COMPUTE_PGM_RSRC2:SCRATCH_EN: 1
; COMPUTE_PGM_RSRC2:USER_SGPR: 2
; COMPUTE_PGM_RSRC2:TRAP_HANDLER: 0
; COMPUTE_PGM_RSRC2:TGID_X_EN: 1
; COMPUTE_PGM_RSRC2:TGID_Y_EN: 0
; COMPUTE_PGM_RSRC2:TGID_Z_EN: 0
; COMPUTE_PGM_RSRC2:TIDIG_COMP_CNT: 0
; COMPUTE_PGM_RSRC3_GFX90A:ACCUM_OFFSET: 37
; COMPUTE_PGM_RSRC3_GFX90A:TG_SPLIT: 0
	.section	.text._Z20warp_exchange_kernelILj256ELj1ELj64E18ScatterToStripedOpoEvPT3_j,"axG",@progbits,_Z20warp_exchange_kernelILj256ELj1ELj64E18ScatterToStripedOpoEvPT3_j,comdat
	.protected	_Z20warp_exchange_kernelILj256ELj1ELj64E18ScatterToStripedOpoEvPT3_j ; -- Begin function _Z20warp_exchange_kernelILj256ELj1ELj64E18ScatterToStripedOpoEvPT3_j
	.globl	_Z20warp_exchange_kernelILj256ELj1ELj64E18ScatterToStripedOpoEvPT3_j
	.p2align	8
	.type	_Z20warp_exchange_kernelILj256ELj1ELj64E18ScatterToStripedOpoEvPT3_j,@function
_Z20warp_exchange_kernelILj256ELj1ELj64E18ScatterToStripedOpoEvPT3_j: ; @_Z20warp_exchange_kernelILj256ELj1ELj64E18ScatterToStripedOpoEvPT3_j
; %bb.0:
	s_load_dword s3, s[0:1], 0x8
	v_mov_b32_e32 v1, 0
	s_waitcnt lgkmcnt(0)
	s_cmp_eq_u32 s3, 0
	s_cbranch_scc1 .LBB140_3
; %bb.1:
	v_not_b32_e32 v2, v0
	v_lshlrev_b32_e32 v3, 4, v0
	v_mbcnt_lo_u32_b32 v6, -1, 0
	v_and_b32_e32 v2, 63, v2
	v_and_b32_e32 v3, 0xc00, v3
	v_mbcnt_hi_u32_b32 v7, -1, v6
	v_mov_b64_e32 v[4:5], 0
	v_lshl_or_b32 v6, v2, 4, v3
	v_lshl_add_u32 v7, v7, 4, v3
	v_mov_b64_e32 v[2:3], v[0:1]
.LBB140_2:                              ; =>This Inner Loop Header: Depth=1
	s_waitcnt lgkmcnt(0)
	ds_write_b128 v6, v[2:5]
	; wave barrier
	ds_read_b128 v[2:5], v7
	s_add_i32 s3, s3, -1
	s_cmp_lg_u32 s3, 0
	; wave barrier
	s_cbranch_scc1 .LBB140_2
	s_branch .LBB140_4
.LBB140_3:
	v_mov_b64_e32 v[4:5], 0
	v_mov_b64_e32 v[2:3], v[0:1]
.LBB140_4:
	s_load_dwordx2 s[0:1], s[0:1], 0x0
	v_lshl_or_b32 v0, s2, 8, v0
	v_mov_b32_e32 v1, 0
	s_waitcnt lgkmcnt(0)
	v_lshl_add_u64 v[0:1], v[0:1], 4, s[0:1]
	global_store_dwordx4 v[0:1], v[2:5], off
	s_endpgm
	.section	.rodata,"a",@progbits
	.p2align	6, 0x0
	.amdhsa_kernel _Z20warp_exchange_kernelILj256ELj1ELj64E18ScatterToStripedOpoEvPT3_j
		.amdhsa_group_segment_fixed_size 4096
		.amdhsa_private_segment_fixed_size 0
		.amdhsa_kernarg_size 12
		.amdhsa_user_sgpr_count 2
		.amdhsa_user_sgpr_dispatch_ptr 0
		.amdhsa_user_sgpr_queue_ptr 0
		.amdhsa_user_sgpr_kernarg_segment_ptr 1
		.amdhsa_user_sgpr_dispatch_id 0
		.amdhsa_user_sgpr_kernarg_preload_length 0
		.amdhsa_user_sgpr_kernarg_preload_offset 0
		.amdhsa_user_sgpr_private_segment_size 0
		.amdhsa_uses_dynamic_stack 0
		.amdhsa_enable_private_segment 0
		.amdhsa_system_sgpr_workgroup_id_x 1
		.amdhsa_system_sgpr_workgroup_id_y 0
		.amdhsa_system_sgpr_workgroup_id_z 0
		.amdhsa_system_sgpr_workgroup_info 0
		.amdhsa_system_vgpr_workitem_id 0
		.amdhsa_next_free_vgpr 8
		.amdhsa_next_free_sgpr 4
		.amdhsa_accum_offset 8
		.amdhsa_reserve_vcc 0
		.amdhsa_float_round_mode_32 0
		.amdhsa_float_round_mode_16_64 0
		.amdhsa_float_denorm_mode_32 3
		.amdhsa_float_denorm_mode_16_64 3
		.amdhsa_dx10_clamp 1
		.amdhsa_ieee_mode 1
		.amdhsa_fp16_overflow 0
		.amdhsa_tg_split 0
		.amdhsa_exception_fp_ieee_invalid_op 0
		.amdhsa_exception_fp_denorm_src 0
		.amdhsa_exception_fp_ieee_div_zero 0
		.amdhsa_exception_fp_ieee_overflow 0
		.amdhsa_exception_fp_ieee_underflow 0
		.amdhsa_exception_fp_ieee_inexact 0
		.amdhsa_exception_int_div_zero 0
	.end_amdhsa_kernel
	.section	.text._Z20warp_exchange_kernelILj256ELj1ELj64E18ScatterToStripedOpoEvPT3_j,"axG",@progbits,_Z20warp_exchange_kernelILj256ELj1ELj64E18ScatterToStripedOpoEvPT3_j,comdat
.Lfunc_end140:
	.size	_Z20warp_exchange_kernelILj256ELj1ELj64E18ScatterToStripedOpoEvPT3_j, .Lfunc_end140-_Z20warp_exchange_kernelILj256ELj1ELj64E18ScatterToStripedOpoEvPT3_j
                                        ; -- End function
	.section	.AMDGPU.csdata,"",@progbits
; Kernel info:
; codeLenInByte = 172
; NumSgprs: 10
; NumVgprs: 8
; NumAgprs: 0
; TotalNumVgprs: 8
; ScratchSize: 0
; MemoryBound: 0
; FloatMode: 240
; IeeeMode: 1
; LDSByteSize: 4096 bytes/workgroup (compile time only)
; SGPRBlocks: 1
; VGPRBlocks: 0
; NumSGPRsForWavesPerEU: 10
; NumVGPRsForWavesPerEU: 8
; AccumOffset: 8
; Occupancy: 8
; WaveLimiterHint : 0
; COMPUTE_PGM_RSRC2:SCRATCH_EN: 0
; COMPUTE_PGM_RSRC2:USER_SGPR: 2
; COMPUTE_PGM_RSRC2:TRAP_HANDLER: 0
; COMPUTE_PGM_RSRC2:TGID_X_EN: 1
; COMPUTE_PGM_RSRC2:TGID_Y_EN: 0
; COMPUTE_PGM_RSRC2:TGID_Z_EN: 0
; COMPUTE_PGM_RSRC2:TIDIG_COMP_CNT: 0
; COMPUTE_PGM_RSRC3_GFX90A:ACCUM_OFFSET: 1
; COMPUTE_PGM_RSRC3_GFX90A:TG_SPLIT: 0
	.section	.text._Z20warp_exchange_kernelILj256ELj4ELj64E18ScatterToStripedOpoEvPT3_j,"axG",@progbits,_Z20warp_exchange_kernelILj256ELj4ELj64E18ScatterToStripedOpoEvPT3_j,comdat
	.protected	_Z20warp_exchange_kernelILj256ELj4ELj64E18ScatterToStripedOpoEvPT3_j ; -- Begin function _Z20warp_exchange_kernelILj256ELj4ELj64E18ScatterToStripedOpoEvPT3_j
	.globl	_Z20warp_exchange_kernelILj256ELj4ELj64E18ScatterToStripedOpoEvPT3_j
	.p2align	8
	.type	_Z20warp_exchange_kernelILj256ELj4ELj64E18ScatterToStripedOpoEvPT3_j,@function
_Z20warp_exchange_kernelILj256ELj4ELj64E18ScatterToStripedOpoEvPT3_j: ; @_Z20warp_exchange_kernelILj256ELj4ELj64E18ScatterToStripedOpoEvPT3_j
; %bb.0:
	s_load_dword s3, s[0:1], 0x8
	v_lshlrev_b32_e32 v18, 2, v0
	v_or_b32_e32 v10, 1, v18
	v_or_b32_e32 v6, 2, v18
	;; [unrolled: 1-line block ×3, first 2 shown]
	s_waitcnt lgkmcnt(0)
	s_cmp_eq_u32 s3, 0
	s_cbranch_scc1 .LBB141_3
; %bb.1:
	v_and_b32_e32 v1, 0xfc, v18
	v_lshlrev_b32_e32 v0, 6, v0
	v_mov_b32_e32 v3, 0
	v_xor_b32_e32 v8, 0xfc, v1
	v_and_b32_e32 v9, 0x3000, v0
	v_mbcnt_lo_u32_b32 v12, -1, 0
	v_mov_b64_e32 v[4:5], 0
	v_mov_b32_e32 v19, v3
	v_lshl_or_b32 v0, v8, 4, v9
	v_mbcnt_hi_u32_b32 v8, -1, v12
	v_mov_b64_e32 v[16:17], 0
	v_mov_b32_e32 v7, v3
	v_mov_b32_e32 v11, v3
	v_lshl_or_b32 v1, v1, 4, v9
	v_lshl_or_b32 v20, v8, 4, v9
	v_mov_b64_e32 v[8:9], v[4:5]
	v_mov_b64_e32 v[12:13], v[4:5]
	;; [unrolled: 1-line block ×3, first 2 shown]
.LBB141_2:                              ; =>This Inner Loop Header: Depth=1
	s_waitcnt lgkmcnt(3)
	ds_write_b128 v0, v[14:17]
	s_waitcnt lgkmcnt(3)
	ds_write_b128 v1, v[10:13] offset:16
	s_waitcnt lgkmcnt(3)
	ds_write_b128 v0, v[6:9] offset:32
	;; [unrolled: 2-line block ×3, first 2 shown]
	; wave barrier
	ds_read_b128 v[14:17], v20
	ds_read_b128 v[10:13], v20 offset:1024
	ds_read_b128 v[6:9], v20 offset:2048
	;; [unrolled: 1-line block ×3, first 2 shown]
	s_add_i32 s3, s3, -1
	s_cmp_lg_u32 s3, 0
	; wave barrier
	s_cbranch_scc1 .LBB141_2
	s_branch .LBB141_4
.LBB141_3:
	v_mov_b32_e32 v19, 0
	v_mov_b64_e32 v[16:17], 0
	v_mov_b64_e32 v[4:5], 0
	v_mov_b32_e32 v11, v19
	v_mov_b32_e32 v7, v19
	v_mov_b32_e32 v3, v19
	v_mov_b64_e32 v[14:15], v[18:19]
	v_mov_b64_e32 v[12:13], v[16:17]
	;; [unrolled: 1-line block ×3, first 2 shown]
.LBB141_4:
	s_load_dwordx2 s[0:1], s[0:1], 0x0
	v_lshl_or_b32 v0, s2, 10, v18
	v_mov_b32_e32 v1, 0
	s_waitcnt lgkmcnt(0)
	v_lshl_add_u64 v[0:1], v[0:1], 4, s[0:1]
	global_store_dwordx4 v[0:1], v[14:17], off
	global_store_dwordx4 v[0:1], v[10:13], off offset:16
	global_store_dwordx4 v[0:1], v[6:9], off offset:32
	;; [unrolled: 1-line block ×3, first 2 shown]
	s_endpgm
	.section	.rodata,"a",@progbits
	.p2align	6, 0x0
	.amdhsa_kernel _Z20warp_exchange_kernelILj256ELj4ELj64E18ScatterToStripedOpoEvPT3_j
		.amdhsa_group_segment_fixed_size 16384
		.amdhsa_private_segment_fixed_size 0
		.amdhsa_kernarg_size 12
		.amdhsa_user_sgpr_count 2
		.amdhsa_user_sgpr_dispatch_ptr 0
		.amdhsa_user_sgpr_queue_ptr 0
		.amdhsa_user_sgpr_kernarg_segment_ptr 1
		.amdhsa_user_sgpr_dispatch_id 0
		.amdhsa_user_sgpr_kernarg_preload_length 0
		.amdhsa_user_sgpr_kernarg_preload_offset 0
		.amdhsa_user_sgpr_private_segment_size 0
		.amdhsa_uses_dynamic_stack 0
		.amdhsa_enable_private_segment 0
		.amdhsa_system_sgpr_workgroup_id_x 1
		.amdhsa_system_sgpr_workgroup_id_y 0
		.amdhsa_system_sgpr_workgroup_id_z 0
		.amdhsa_system_sgpr_workgroup_info 0
		.amdhsa_system_vgpr_workitem_id 0
		.amdhsa_next_free_vgpr 21
		.amdhsa_next_free_sgpr 4
		.amdhsa_accum_offset 24
		.amdhsa_reserve_vcc 0
		.amdhsa_float_round_mode_32 0
		.amdhsa_float_round_mode_16_64 0
		.amdhsa_float_denorm_mode_32 3
		.amdhsa_float_denorm_mode_16_64 3
		.amdhsa_dx10_clamp 1
		.amdhsa_ieee_mode 1
		.amdhsa_fp16_overflow 0
		.amdhsa_tg_split 0
		.amdhsa_exception_fp_ieee_invalid_op 0
		.amdhsa_exception_fp_denorm_src 0
		.amdhsa_exception_fp_ieee_div_zero 0
		.amdhsa_exception_fp_ieee_overflow 0
		.amdhsa_exception_fp_ieee_underflow 0
		.amdhsa_exception_fp_ieee_inexact 0
		.amdhsa_exception_int_div_zero 0
	.end_amdhsa_kernel
	.section	.text._Z20warp_exchange_kernelILj256ELj4ELj64E18ScatterToStripedOpoEvPT3_j,"axG",@progbits,_Z20warp_exchange_kernelILj256ELj4ELj64E18ScatterToStripedOpoEvPT3_j,comdat
.Lfunc_end141:
	.size	_Z20warp_exchange_kernelILj256ELj4ELj64E18ScatterToStripedOpoEvPT3_j, .Lfunc_end141-_Z20warp_exchange_kernelILj256ELj4ELj64E18ScatterToStripedOpoEvPT3_j
                                        ; -- End function
	.section	.AMDGPU.csdata,"",@progbits
; Kernel info:
; codeLenInByte = 340
; NumSgprs: 10
; NumVgprs: 21
; NumAgprs: 0
; TotalNumVgprs: 21
; ScratchSize: 0
; MemoryBound: 0
; FloatMode: 240
; IeeeMode: 1
; LDSByteSize: 16384 bytes/workgroup (compile time only)
; SGPRBlocks: 1
; VGPRBlocks: 2
; NumSGPRsForWavesPerEU: 10
; NumVGPRsForWavesPerEU: 21
; AccumOffset: 24
; Occupancy: 4
; WaveLimiterHint : 0
; COMPUTE_PGM_RSRC2:SCRATCH_EN: 0
; COMPUTE_PGM_RSRC2:USER_SGPR: 2
; COMPUTE_PGM_RSRC2:TRAP_HANDLER: 0
; COMPUTE_PGM_RSRC2:TGID_X_EN: 1
; COMPUTE_PGM_RSRC2:TGID_Y_EN: 0
; COMPUTE_PGM_RSRC2:TGID_Z_EN: 0
; COMPUTE_PGM_RSRC2:TIDIG_COMP_CNT: 0
; COMPUTE_PGM_RSRC3_GFX90A:ACCUM_OFFSET: 5
; COMPUTE_PGM_RSRC3_GFX90A:TG_SPLIT: 0
	.section	.text._Z20warp_exchange_kernelILj256ELj16ELj64E18ScatterToStripedOpoEvPT3_j,"axG",@progbits,_Z20warp_exchange_kernelILj256ELj16ELj64E18ScatterToStripedOpoEvPT3_j,comdat
	.protected	_Z20warp_exchange_kernelILj256ELj16ELj64E18ScatterToStripedOpoEvPT3_j ; -- Begin function _Z20warp_exchange_kernelILj256ELj16ELj64E18ScatterToStripedOpoEvPT3_j
	.globl	_Z20warp_exchange_kernelILj256ELj16ELj64E18ScatterToStripedOpoEvPT3_j
	.p2align	8
	.type	_Z20warp_exchange_kernelILj256ELj16ELj64E18ScatterToStripedOpoEvPT3_j,@function
_Z20warp_exchange_kernelILj256ELj16ELj64E18ScatterToStripedOpoEvPT3_j: ; @_Z20warp_exchange_kernelILj256ELj16ELj64E18ScatterToStripedOpoEvPT3_j
; %bb.0:
	s_load_dword s3, s[0:1], 0x8
	v_lshlrev_b32_e32 v66, 4, v0
	v_or_b32_e32 v58, 1, v66
	v_or_b32_e32 v54, 2, v66
	;; [unrolled: 1-line block ×14, first 2 shown]
	s_waitcnt lgkmcnt(0)
	s_cmp_eq_u32 s3, 0
	v_or_b32_e32 v2, 15, v66
	s_cbranch_scc1 .LBB142_3
; %bb.1:
	v_lshlrev_b32_e32 v0, 8, v0
	v_mov_b32_e32 v3, 0
	v_and_b32_e32 v4, 0x3f0, v66
	v_and_b32_e32 v5, 0xc000, v0
	v_mbcnt_lo_u32_b32 v0, -1, 0
	v_mov_b64_e32 v[60:61], 0
	v_mov_b32_e32 v67, v3
	v_xor_b32_e32 v1, 0x3f0, v4
	v_mbcnt_hi_u32_b32 v0, -1, v0
	v_mov_b64_e32 v[64:65], 0
	v_mov_b32_e32 v7, v3
	v_mov_b32_e32 v11, v3
	;; [unrolled: 1-line block ×14, first 2 shown]
	v_lshl_or_b32 v0, v0, 4, v5
	v_lshl_or_b32 v1, v1, 4, v5
	;; [unrolled: 1-line block ×3, first 2 shown]
	v_mov_b64_e32 v[62:63], v[66:67]
	v_mov_b64_e32 v[56:57], v[60:61]
	;; [unrolled: 1-line block ×15, first 2 shown]
.LBB142_2:                              ; =>This Inner Loop Header: Depth=1
	s_waitcnt lgkmcnt(14)
	ds_write_b128 v1, v[62:65]
	ds_write_b128 v68, v[58:61] offset:16
	s_waitcnt lgkmcnt(14)
	ds_write_b128 v1, v[54:57] offset:32
	ds_write_b128 v68, v[50:53] offset:48
	s_waitcnt lgkmcnt(14)
	ds_write_b128 v1, v[46:49] offset:64
	;; [unrolled: 3-line block ×7, first 2 shown]
	ds_write_b128 v68, v[2:5] offset:240
	; wave barrier
	ds_read_b128 v[62:65], v0
	ds_read_b128 v[58:61], v0 offset:1024
	ds_read_b128 v[54:57], v0 offset:2048
	;; [unrolled: 1-line block ×15, first 2 shown]
	s_add_i32 s3, s3, -1
	s_cmp_lg_u32 s3, 0
	; wave barrier
	s_cbranch_scc1 .LBB142_2
	s_branch .LBB142_4
.LBB142_3:
	v_mov_b32_e32 v67, 0
	v_mov_b64_e32 v[8:9], 0
	v_mov_b64_e32 v[4:5], 0
	v_mov_b32_e32 v59, v67
	v_mov_b32_e32 v55, v67
	;; [unrolled: 1-line block ×15, first 2 shown]
	v_mov_b64_e32 v[12:13], v[8:9]
	v_mov_b64_e32 v[16:17], v[8:9]
	;; [unrolled: 1-line block ×15, first 2 shown]
.LBB142_4:
	s_load_dwordx2 s[0:1], s[0:1], 0x0
	v_lshl_or_b32 v0, s2, 12, v66
	v_mov_b32_e32 v1, 0
	s_waitcnt lgkmcnt(0)
	v_lshl_add_u64 v[0:1], v[0:1], 4, s[0:1]
	global_store_dwordx4 v[0:1], v[62:65], off
	global_store_dwordx4 v[0:1], v[58:61], off offset:16
	global_store_dwordx4 v[0:1], v[54:57], off offset:32
	;; [unrolled: 1-line block ×15, first 2 shown]
	s_endpgm
	.section	.rodata,"a",@progbits
	.p2align	6, 0x0
	.amdhsa_kernel _Z20warp_exchange_kernelILj256ELj16ELj64E18ScatterToStripedOpoEvPT3_j
		.amdhsa_group_segment_fixed_size 65536
		.amdhsa_private_segment_fixed_size 0
		.amdhsa_kernarg_size 12
		.amdhsa_user_sgpr_count 2
		.amdhsa_user_sgpr_dispatch_ptr 0
		.amdhsa_user_sgpr_queue_ptr 0
		.amdhsa_user_sgpr_kernarg_segment_ptr 1
		.amdhsa_user_sgpr_dispatch_id 0
		.amdhsa_user_sgpr_kernarg_preload_length 0
		.amdhsa_user_sgpr_kernarg_preload_offset 0
		.amdhsa_user_sgpr_private_segment_size 0
		.amdhsa_uses_dynamic_stack 0
		.amdhsa_enable_private_segment 0
		.amdhsa_system_sgpr_workgroup_id_x 1
		.amdhsa_system_sgpr_workgroup_id_y 0
		.amdhsa_system_sgpr_workgroup_id_z 0
		.amdhsa_system_sgpr_workgroup_info 0
		.amdhsa_system_vgpr_workitem_id 0
		.amdhsa_next_free_vgpr 69
		.amdhsa_next_free_sgpr 4
		.amdhsa_accum_offset 72
		.amdhsa_reserve_vcc 0
		.amdhsa_float_round_mode_32 0
		.amdhsa_float_round_mode_16_64 0
		.amdhsa_float_denorm_mode_32 3
		.amdhsa_float_denorm_mode_16_64 3
		.amdhsa_dx10_clamp 1
		.amdhsa_ieee_mode 1
		.amdhsa_fp16_overflow 0
		.amdhsa_tg_split 0
		.amdhsa_exception_fp_ieee_invalid_op 0
		.amdhsa_exception_fp_denorm_src 0
		.amdhsa_exception_fp_ieee_div_zero 0
		.amdhsa_exception_fp_ieee_overflow 0
		.amdhsa_exception_fp_ieee_underflow 0
		.amdhsa_exception_fp_ieee_inexact 0
		.amdhsa_exception_int_div_zero 0
	.end_amdhsa_kernel
	.section	.text._Z20warp_exchange_kernelILj256ELj16ELj64E18ScatterToStripedOpoEvPT3_j,"axG",@progbits,_Z20warp_exchange_kernelILj256ELj16ELj64E18ScatterToStripedOpoEvPT3_j,comdat
.Lfunc_end142:
	.size	_Z20warp_exchange_kernelILj256ELj16ELj64E18ScatterToStripedOpoEvPT3_j, .Lfunc_end142-_Z20warp_exchange_kernelILj256ELj16ELj64E18ScatterToStripedOpoEvPT3_j
                                        ; -- End function
	.section	.AMDGPU.csdata,"",@progbits
; Kernel info:
; codeLenInByte = 884
; NumSgprs: 10
; NumVgprs: 69
; NumAgprs: 0
; TotalNumVgprs: 69
; ScratchSize: 0
; MemoryBound: 1
; FloatMode: 240
; IeeeMode: 1
; LDSByteSize: 65536 bytes/workgroup (compile time only)
; SGPRBlocks: 1
; VGPRBlocks: 8
; NumSGPRsForWavesPerEU: 10
; NumVGPRsForWavesPerEU: 69
; AccumOffset: 72
; Occupancy: 1
; WaveLimiterHint : 1
; COMPUTE_PGM_RSRC2:SCRATCH_EN: 0
; COMPUTE_PGM_RSRC2:USER_SGPR: 2
; COMPUTE_PGM_RSRC2:TRAP_HANDLER: 0
; COMPUTE_PGM_RSRC2:TGID_X_EN: 1
; COMPUTE_PGM_RSRC2:TGID_Y_EN: 0
; COMPUTE_PGM_RSRC2:TGID_Z_EN: 0
; COMPUTE_PGM_RSRC2:TIDIG_COMP_CNT: 0
; COMPUTE_PGM_RSRC3_GFX90A:ACCUM_OFFSET: 17
; COMPUTE_PGM_RSRC3_GFX90A:TG_SPLIT: 0
	.text
	.p2alignl 6, 3212836864
	.fill 256, 4, 3212836864
	.type	__hip_cuid_fa115e17b0503b88,@object ; @__hip_cuid_fa115e17b0503b88
	.section	.bss,"aw",@nobits
	.globl	__hip_cuid_fa115e17b0503b88
__hip_cuid_fa115e17b0503b88:
	.byte	0                               ; 0x0
	.size	__hip_cuid_fa115e17b0503b88, 1

	.ident	"AMD clang version 19.0.0git (https://github.com/RadeonOpenCompute/llvm-project roc-6.4.0 25133 c7fe45cf4b819c5991fe208aaa96edf142730f1d)"
	.section	".note.GNU-stack","",@progbits
	.addrsig
	.addrsig_sym __hip_cuid_fa115e17b0503b88
	.amdgpu_metadata
---
amdhsa.kernels:
  - .agpr_count:     0
    .args:
      - .address_space:  global
        .offset:         0
        .size:           8
        .value_kind:     global_buffer
      - .offset:         8
        .size:           4
        .value_kind:     by_value
    .group_segment_fixed_size: 1024
    .kernarg_segment_align: 8
    .kernarg_segment_size: 12
    .language:       OpenCL C
    .language_version:
      - 2
      - 0
    .max_flat_workgroup_size: 256
    .name:           _Z20warp_exchange_kernelILj256ELj1ELj16EN6common18BlockedToStripedOpEiEvPT3_j
    .private_segment_fixed_size: 0
    .sgpr_count:     11
    .sgpr_spill_count: 0
    .symbol:         _Z20warp_exchange_kernelILj256ELj1ELj16EN6common18BlockedToStripedOpEiEvPT3_j.kd
    .uniform_work_group_size: 1
    .uses_dynamic_stack: false
    .vgpr_count:     4
    .vgpr_spill_count: 0
    .wavefront_size: 64
  - .agpr_count:     0
    .args:
      - .address_space:  global
        .offset:         0
        .size:           8
        .value_kind:     global_buffer
      - .offset:         8
        .size:           4
        .value_kind:     by_value
    .group_segment_fixed_size: 1024
    .kernarg_segment_align: 8
    .kernarg_segment_size: 12
    .language:       OpenCL C
    .language_version:
      - 2
      - 0
    .max_flat_workgroup_size: 256
    .name:           _Z20warp_exchange_kernelILj256ELj1ELj32EN6common18BlockedToStripedOpEiEvPT3_j
    .private_segment_fixed_size: 0
    .sgpr_count:     11
    .sgpr_spill_count: 0
    .symbol:         _Z20warp_exchange_kernelILj256ELj1ELj32EN6common18BlockedToStripedOpEiEvPT3_j.kd
    .uniform_work_group_size: 1
    .uses_dynamic_stack: false
    .vgpr_count:     4
    .vgpr_spill_count: 0
    .wavefront_size: 64
  - .agpr_count:     0
    .args:
      - .address_space:  global
        .offset:         0
        .size:           8
        .value_kind:     global_buffer
      - .offset:         8
        .size:           4
        .value_kind:     by_value
    .group_segment_fixed_size: 4096
    .kernarg_segment_align: 8
    .kernarg_segment_size: 12
    .language:       OpenCL C
    .language_version:
      - 2
      - 0
    .max_flat_workgroup_size: 256
    .name:           _Z20warp_exchange_kernelILj256ELj4ELj16EN6common18BlockedToStripedOpEiEvPT3_j
    .private_segment_fixed_size: 0
    .sgpr_count:     11
    .sgpr_spill_count: 0
    .symbol:         _Z20warp_exchange_kernelILj256ELj4ELj16EN6common18BlockedToStripedOpEiEvPT3_j.kd
    .uniform_work_group_size: 1
    .uses_dynamic_stack: false
    .vgpr_count:     8
    .vgpr_spill_count: 0
    .wavefront_size: 64
  - .agpr_count:     0
    .args:
      - .address_space:  global
        .offset:         0
        .size:           8
        .value_kind:     global_buffer
      - .offset:         8
        .size:           4
        .value_kind:     by_value
    .group_segment_fixed_size: 4096
    .kernarg_segment_align: 8
    .kernarg_segment_size: 12
    .language:       OpenCL C
    .language_version:
      - 2
      - 0
    .max_flat_workgroup_size: 256
    .name:           _Z20warp_exchange_kernelILj256ELj4ELj32EN6common18BlockedToStripedOpEiEvPT3_j
    .private_segment_fixed_size: 0
    .sgpr_count:     11
    .sgpr_spill_count: 0
    .symbol:         _Z20warp_exchange_kernelILj256ELj4ELj32EN6common18BlockedToStripedOpEiEvPT3_j.kd
    .uniform_work_group_size: 1
    .uses_dynamic_stack: false
    .vgpr_count:     8
    .vgpr_spill_count: 0
    .wavefront_size: 64
  - .agpr_count:     0
    .args:
      - .address_space:  global
        .offset:         0
        .size:           8
        .value_kind:     global_buffer
      - .offset:         8
        .size:           4
        .value_kind:     by_value
    .group_segment_fixed_size: 16384
    .kernarg_segment_align: 8
    .kernarg_segment_size: 12
    .language:       OpenCL C
    .language_version:
      - 2
      - 0
    .max_flat_workgroup_size: 256
    .name:           _Z20warp_exchange_kernelILj256ELj16ELj16EN6common18BlockedToStripedOpEiEvPT3_j
    .private_segment_fixed_size: 0
    .sgpr_count:     11
    .sgpr_spill_count: 0
    .symbol:         _Z20warp_exchange_kernelILj256ELj16ELj16EN6common18BlockedToStripedOpEiEvPT3_j.kd
    .uniform_work_group_size: 1
    .uses_dynamic_stack: false
    .vgpr_count:     34
    .vgpr_spill_count: 0
    .wavefront_size: 64
  - .agpr_count:     0
    .args:
      - .address_space:  global
        .offset:         0
        .size:           8
        .value_kind:     global_buffer
      - .offset:         8
        .size:           4
        .value_kind:     by_value
    .group_segment_fixed_size: 16384
    .kernarg_segment_align: 8
    .kernarg_segment_size: 12
    .language:       OpenCL C
    .language_version:
      - 2
      - 0
    .max_flat_workgroup_size: 256
    .name:           _Z20warp_exchange_kernelILj256ELj16ELj32EN6common18BlockedToStripedOpEiEvPT3_j
    .private_segment_fixed_size: 0
    .sgpr_count:     11
    .sgpr_spill_count: 0
    .symbol:         _Z20warp_exchange_kernelILj256ELj16ELj32EN6common18BlockedToStripedOpEiEvPT3_j.kd
    .uniform_work_group_size: 1
    .uses_dynamic_stack: false
    .vgpr_count:     35
    .vgpr_spill_count: 0
    .wavefront_size: 64
  - .agpr_count:     0
    .args:
      - .address_space:  global
        .offset:         0
        .size:           8
        .value_kind:     global_buffer
      - .offset:         8
        .size:           4
        .value_kind:     by_value
    .group_segment_fixed_size: 32768
    .kernarg_segment_align: 8
    .kernarg_segment_size: 12
    .language:       OpenCL C
    .language_version:
      - 2
      - 0
    .max_flat_workgroup_size: 256
    .name:           _Z20warp_exchange_kernelILj256ELj32ELj32EN6common18BlockedToStripedOpEiEvPT3_j
    .private_segment_fixed_size: 0
    .sgpr_count:     11
    .sgpr_spill_count: 0
    .symbol:         _Z20warp_exchange_kernelILj256ELj32ELj32EN6common18BlockedToStripedOpEiEvPT3_j.kd
    .uniform_work_group_size: 1
    .uses_dynamic_stack: false
    .vgpr_count:     69
    .vgpr_spill_count: 0
    .wavefront_size: 64
  - .agpr_count:     0
    .args:
      - .address_space:  global
        .offset:         0
        .size:           8
        .value_kind:     global_buffer
      - .offset:         8
        .size:           4
        .value_kind:     by_value
    .group_segment_fixed_size: 1024
    .kernarg_segment_align: 8
    .kernarg_segment_size: 12
    .language:       OpenCL C
    .language_version:
      - 2
      - 0
    .max_flat_workgroup_size: 256
    .name:           _Z20warp_exchange_kernelILj256ELj1ELj16EN6common18StripedToBlockedOpEiEvPT3_j
    .private_segment_fixed_size: 0
    .sgpr_count:     11
    .sgpr_spill_count: 0
    .symbol:         _Z20warp_exchange_kernelILj256ELj1ELj16EN6common18StripedToBlockedOpEiEvPT3_j.kd
    .uniform_work_group_size: 1
    .uses_dynamic_stack: false
    .vgpr_count:     4
    .vgpr_spill_count: 0
    .wavefront_size: 64
  - .agpr_count:     0
    .args:
      - .address_space:  global
        .offset:         0
        .size:           8
        .value_kind:     global_buffer
      - .offset:         8
        .size:           4
        .value_kind:     by_value
    .group_segment_fixed_size: 1024
    .kernarg_segment_align: 8
    .kernarg_segment_size: 12
    .language:       OpenCL C
    .language_version:
      - 2
      - 0
    .max_flat_workgroup_size: 256
    .name:           _Z20warp_exchange_kernelILj256ELj1ELj32EN6common18StripedToBlockedOpEiEvPT3_j
    .private_segment_fixed_size: 0
    .sgpr_count:     11
    .sgpr_spill_count: 0
    .symbol:         _Z20warp_exchange_kernelILj256ELj1ELj32EN6common18StripedToBlockedOpEiEvPT3_j.kd
    .uniform_work_group_size: 1
    .uses_dynamic_stack: false
    .vgpr_count:     4
    .vgpr_spill_count: 0
    .wavefront_size: 64
  - .agpr_count:     0
    .args:
      - .address_space:  global
        .offset:         0
        .size:           8
        .value_kind:     global_buffer
      - .offset:         8
        .size:           4
        .value_kind:     by_value
    .group_segment_fixed_size: 4096
    .kernarg_segment_align: 8
    .kernarg_segment_size: 12
    .language:       OpenCL C
    .language_version:
      - 2
      - 0
    .max_flat_workgroup_size: 256
    .name:           _Z20warp_exchange_kernelILj256ELj4ELj16EN6common18StripedToBlockedOpEiEvPT3_j
    .private_segment_fixed_size: 0
    .sgpr_count:     11
    .sgpr_spill_count: 0
    .symbol:         _Z20warp_exchange_kernelILj256ELj4ELj16EN6common18StripedToBlockedOpEiEvPT3_j.kd
    .uniform_work_group_size: 1
    .uses_dynamic_stack: false
    .vgpr_count:     8
    .vgpr_spill_count: 0
    .wavefront_size: 64
  - .agpr_count:     0
    .args:
      - .address_space:  global
        .offset:         0
        .size:           8
        .value_kind:     global_buffer
      - .offset:         8
        .size:           4
        .value_kind:     by_value
    .group_segment_fixed_size: 4096
    .kernarg_segment_align: 8
    .kernarg_segment_size: 12
    .language:       OpenCL C
    .language_version:
      - 2
      - 0
    .max_flat_workgroup_size: 256
    .name:           _Z20warp_exchange_kernelILj256ELj4ELj32EN6common18StripedToBlockedOpEiEvPT3_j
    .private_segment_fixed_size: 0
    .sgpr_count:     11
    .sgpr_spill_count: 0
    .symbol:         _Z20warp_exchange_kernelILj256ELj4ELj32EN6common18StripedToBlockedOpEiEvPT3_j.kd
    .uniform_work_group_size: 1
    .uses_dynamic_stack: false
    .vgpr_count:     8
    .vgpr_spill_count: 0
    .wavefront_size: 64
  - .agpr_count:     0
    .args:
      - .address_space:  global
        .offset:         0
        .size:           8
        .value_kind:     global_buffer
      - .offset:         8
        .size:           4
        .value_kind:     by_value
    .group_segment_fixed_size: 16384
    .kernarg_segment_align: 8
    .kernarg_segment_size: 12
    .language:       OpenCL C
    .language_version:
      - 2
      - 0
    .max_flat_workgroup_size: 256
    .name:           _Z20warp_exchange_kernelILj256ELj16ELj16EN6common18StripedToBlockedOpEiEvPT3_j
    .private_segment_fixed_size: 0
    .sgpr_count:     11
    .sgpr_spill_count: 0
    .symbol:         _Z20warp_exchange_kernelILj256ELj16ELj16EN6common18StripedToBlockedOpEiEvPT3_j.kd
    .uniform_work_group_size: 1
    .uses_dynamic_stack: false
    .vgpr_count:     20
    .vgpr_spill_count: 0
    .wavefront_size: 64
  - .agpr_count:     0
    .args:
      - .address_space:  global
        .offset:         0
        .size:           8
        .value_kind:     global_buffer
      - .offset:         8
        .size:           4
        .value_kind:     by_value
    .group_segment_fixed_size: 16384
    .kernarg_segment_align: 8
    .kernarg_segment_size: 12
    .language:       OpenCL C
    .language_version:
      - 2
      - 0
    .max_flat_workgroup_size: 256
    .name:           _Z20warp_exchange_kernelILj256ELj16ELj32EN6common18StripedToBlockedOpEiEvPT3_j
    .private_segment_fixed_size: 0
    .sgpr_count:     11
    .sgpr_spill_count: 0
    .symbol:         _Z20warp_exchange_kernelILj256ELj16ELj32EN6common18StripedToBlockedOpEiEvPT3_j.kd
    .uniform_work_group_size: 1
    .uses_dynamic_stack: false
    .vgpr_count:     20
    .vgpr_spill_count: 0
    .wavefront_size: 64
  - .agpr_count:     0
    .args:
      - .address_space:  global
        .offset:         0
        .size:           8
        .value_kind:     global_buffer
      - .offset:         8
        .size:           4
        .value_kind:     by_value
    .group_segment_fixed_size: 32768
    .kernarg_segment_align: 8
    .kernarg_segment_size: 12
    .language:       OpenCL C
    .language_version:
      - 2
      - 0
    .max_flat_workgroup_size: 256
    .name:           _Z20warp_exchange_kernelILj256ELj32ELj32EN6common18StripedToBlockedOpEiEvPT3_j
    .private_segment_fixed_size: 0
    .sgpr_count:     11
    .sgpr_spill_count: 0
    .symbol:         _Z20warp_exchange_kernelILj256ELj32ELj32EN6common18StripedToBlockedOpEiEvPT3_j.kd
    .uniform_work_group_size: 1
    .uses_dynamic_stack: false
    .vgpr_count:     38
    .vgpr_spill_count: 0
    .wavefront_size: 64
  - .agpr_count:     0
    .args:
      - .address_space:  global
        .offset:         0
        .size:           8
        .value_kind:     global_buffer
      - .offset:         8
        .size:           4
        .value_kind:     by_value
    .group_segment_fixed_size: 0
    .kernarg_segment_align: 8
    .kernarg_segment_size: 12
    .language:       OpenCL C
    .language_version:
      - 2
      - 0
    .max_flat_workgroup_size: 256
    .name:           _Z20warp_exchange_kernelILj256ELj1ELj16EN6common25BlockedToStripedShuffleOpEiEvPT3_j
    .private_segment_fixed_size: 0
    .sgpr_count:     10
    .sgpr_spill_count: 0
    .symbol:         _Z20warp_exchange_kernelILj256ELj1ELj16EN6common25BlockedToStripedShuffleOpEiEvPT3_j.kd
    .uniform_work_group_size: 1
    .uses_dynamic_stack: false
    .vgpr_count:     4
    .vgpr_spill_count: 0
    .wavefront_size: 64
  - .agpr_count:     0
    .args:
      - .address_space:  global
        .offset:         0
        .size:           8
        .value_kind:     global_buffer
      - .offset:         8
        .size:           4
        .value_kind:     by_value
    .group_segment_fixed_size: 0
    .kernarg_segment_align: 8
    .kernarg_segment_size: 12
    .language:       OpenCL C
    .language_version:
      - 2
      - 0
    .max_flat_workgroup_size: 256
    .name:           _Z20warp_exchange_kernelILj256ELj1ELj32EN6common25BlockedToStripedShuffleOpEiEvPT3_j
    .private_segment_fixed_size: 0
    .sgpr_count:     10
    .sgpr_spill_count: 0
    .symbol:         _Z20warp_exchange_kernelILj256ELj1ELj32EN6common25BlockedToStripedShuffleOpEiEvPT3_j.kd
    .uniform_work_group_size: 1
    .uses_dynamic_stack: false
    .vgpr_count:     4
    .vgpr_spill_count: 0
    .wavefront_size: 64
  - .agpr_count:     0
    .args:
      - .address_space:  global
        .offset:         0
        .size:           8
        .value_kind:     global_buffer
      - .offset:         8
        .size:           4
        .value_kind:     by_value
    .group_segment_fixed_size: 0
    .kernarg_segment_align: 8
    .kernarg_segment_size: 12
    .language:       OpenCL C
    .language_version:
      - 2
      - 0
    .max_flat_workgroup_size: 256
    .name:           _Z20warp_exchange_kernelILj256ELj4ELj16EN6common25BlockedToStripedShuffleOpEiEvPT3_j
    .private_segment_fixed_size: 0
    .sgpr_count:     58
    .sgpr_spill_count: 0
    .symbol:         _Z20warp_exchange_kernelILj256ELj4ELj16EN6common25BlockedToStripedShuffleOpEiEvPT3_j.kd
    .uniform_work_group_size: 1
    .uses_dynamic_stack: false
    .vgpr_count:     21
    .vgpr_spill_count: 0
    .wavefront_size: 64
  - .agpr_count:     0
    .args:
      - .address_space:  global
        .offset:         0
        .size:           8
        .value_kind:     global_buffer
      - .offset:         8
        .size:           4
        .value_kind:     by_value
    .group_segment_fixed_size: 0
    .kernarg_segment_align: 8
    .kernarg_segment_size: 12
    .language:       OpenCL C
    .language_version:
      - 2
      - 0
    .max_flat_workgroup_size: 256
    .name:           _Z20warp_exchange_kernelILj256ELj4ELj32EN6common25BlockedToStripedShuffleOpEiEvPT3_j
    .private_segment_fixed_size: 0
    .sgpr_count:     15
    .sgpr_spill_count: 0
    .symbol:         _Z20warp_exchange_kernelILj256ELj4ELj32EN6common25BlockedToStripedShuffleOpEiEvPT3_j.kd
    .uniform_work_group_size: 1
    .uses_dynamic_stack: false
    .vgpr_count:     17
    .vgpr_spill_count: 0
    .wavefront_size: 64
  - .agpr_count:     0
    .args:
      - .address_space:  global
        .offset:         0
        .size:           8
        .value_kind:     global_buffer
      - .offset:         8
        .size:           4
        .value_kind:     by_value
    .group_segment_fixed_size: 0
    .kernarg_segment_align: 8
    .kernarg_segment_size: 12
    .language:       OpenCL C
    .language_version:
      - 2
      - 0
    .max_flat_workgroup_size: 256
    .name:           _Z20warp_exchange_kernelILj256ELj16ELj16EN6common25BlockedToStripedShuffleOpEiEvPT3_j
    .private_segment_fixed_size: 80
    .sgpr_count:     10
    .sgpr_spill_count: 0
    .symbol:         _Z20warp_exchange_kernelILj256ELj16ELj16EN6common25BlockedToStripedShuffleOpEiEvPT3_j.kd
    .uniform_work_group_size: 1
    .uses_dynamic_stack: false
    .vgpr_count:     49
    .vgpr_spill_count: 0
    .wavefront_size: 64
  - .agpr_count:     0
    .args:
      - .address_space:  global
        .offset:         0
        .size:           8
        .value_kind:     global_buffer
      - .offset:         8
        .size:           4
        .value_kind:     by_value
    .group_segment_fixed_size: 0
    .kernarg_segment_align: 8
    .kernarg_segment_size: 12
    .language:       OpenCL C
    .language_version:
      - 2
      - 0
    .max_flat_workgroup_size: 256
    .name:           _Z20warp_exchange_kernelILj256ELj16ELj32EN6common25BlockedToStripedShuffleOpEiEvPT3_j
    .private_segment_fixed_size: 0
    .sgpr_count:     86
    .sgpr_spill_count: 0
    .symbol:         _Z20warp_exchange_kernelILj256ELj16ELj32EN6common25BlockedToStripedShuffleOpEiEvPT3_j.kd
    .uniform_work_group_size: 1
    .uses_dynamic_stack: false
    .vgpr_count:     84
    .vgpr_spill_count: 0
    .wavefront_size: 64
  - .agpr_count:     0
    .args:
      - .address_space:  global
        .offset:         0
        .size:           8
        .value_kind:     global_buffer
      - .offset:         8
        .size:           4
        .value_kind:     by_value
    .group_segment_fixed_size: 0
    .kernarg_segment_align: 8
    .kernarg_segment_size: 12
    .language:       OpenCL C
    .language_version:
      - 2
      - 0
    .max_flat_workgroup_size: 256
    .name:           _Z20warp_exchange_kernelILj256ELj32ELj32EN6common25BlockedToStripedShuffleOpEiEvPT3_j
    .private_segment_fixed_size: 144
    .sgpr_count:     16
    .sgpr_spill_count: 0
    .symbol:         _Z20warp_exchange_kernelILj256ELj32ELj32EN6common25BlockedToStripedShuffleOpEiEvPT3_j.kd
    .uniform_work_group_size: 1
    .uses_dynamic_stack: false
    .vgpr_count:     114
    .vgpr_spill_count: 0
    .wavefront_size: 64
  - .agpr_count:     0
    .args:
      - .address_space:  global
        .offset:         0
        .size:           8
        .value_kind:     global_buffer
      - .offset:         8
        .size:           4
        .value_kind:     by_value
    .group_segment_fixed_size: 0
    .kernarg_segment_align: 8
    .kernarg_segment_size: 12
    .language:       OpenCL C
    .language_version:
      - 2
      - 0
    .max_flat_workgroup_size: 256
    .name:           _Z20warp_exchange_kernelILj256ELj1ELj16EN6common25StripedToBlockedShuffleOpEiEvPT3_j
    .private_segment_fixed_size: 0
    .sgpr_count:     10
    .sgpr_spill_count: 0
    .symbol:         _Z20warp_exchange_kernelILj256ELj1ELj16EN6common25StripedToBlockedShuffleOpEiEvPT3_j.kd
    .uniform_work_group_size: 1
    .uses_dynamic_stack: false
    .vgpr_count:     4
    .vgpr_spill_count: 0
    .wavefront_size: 64
  - .agpr_count:     0
    .args:
      - .address_space:  global
        .offset:         0
        .size:           8
        .value_kind:     global_buffer
      - .offset:         8
        .size:           4
        .value_kind:     by_value
    .group_segment_fixed_size: 0
    .kernarg_segment_align: 8
    .kernarg_segment_size: 12
    .language:       OpenCL C
    .language_version:
      - 2
      - 0
    .max_flat_workgroup_size: 256
    .name:           _Z20warp_exchange_kernelILj256ELj1ELj32EN6common25StripedToBlockedShuffleOpEiEvPT3_j
    .private_segment_fixed_size: 0
    .sgpr_count:     10
    .sgpr_spill_count: 0
    .symbol:         _Z20warp_exchange_kernelILj256ELj1ELj32EN6common25StripedToBlockedShuffleOpEiEvPT3_j.kd
    .uniform_work_group_size: 1
    .uses_dynamic_stack: false
    .vgpr_count:     4
    .vgpr_spill_count: 0
    .wavefront_size: 64
  - .agpr_count:     0
    .args:
      - .address_space:  global
        .offset:         0
        .size:           8
        .value_kind:     global_buffer
      - .offset:         8
        .size:           4
        .value_kind:     by_value
    .group_segment_fixed_size: 0
    .kernarg_segment_align: 8
    .kernarg_segment_size: 12
    .language:       OpenCL C
    .language_version:
      - 2
      - 0
    .max_flat_workgroup_size: 256
    .name:           _Z20warp_exchange_kernelILj256ELj4ELj16EN6common25StripedToBlockedShuffleOpEiEvPT3_j
    .private_segment_fixed_size: 0
    .sgpr_count:     64
    .sgpr_spill_count: 0
    .symbol:         _Z20warp_exchange_kernelILj256ELj4ELj16EN6common25StripedToBlockedShuffleOpEiEvPT3_j.kd
    .uniform_work_group_size: 1
    .uses_dynamic_stack: false
    .vgpr_count:     19
    .vgpr_spill_count: 0
    .wavefront_size: 64
  - .agpr_count:     0
    .args:
      - .address_space:  global
        .offset:         0
        .size:           8
        .value_kind:     global_buffer
      - .offset:         8
        .size:           4
        .value_kind:     by_value
    .group_segment_fixed_size: 0
    .kernarg_segment_align: 8
    .kernarg_segment_size: 12
    .language:       OpenCL C
    .language_version:
      - 2
      - 0
    .max_flat_workgroup_size: 256
    .name:           _Z20warp_exchange_kernelILj256ELj4ELj32EN6common25StripedToBlockedShuffleOpEiEvPT3_j
    .private_segment_fixed_size: 0
    .sgpr_count:     14
    .sgpr_spill_count: 0
    .symbol:         _Z20warp_exchange_kernelILj256ELj4ELj32EN6common25StripedToBlockedShuffleOpEiEvPT3_j.kd
    .uniform_work_group_size: 1
    .uses_dynamic_stack: false
    .vgpr_count:     17
    .vgpr_spill_count: 0
    .wavefront_size: 64
  - .agpr_count:     0
    .args:
      - .address_space:  global
        .offset:         0
        .size:           8
        .value_kind:     global_buffer
      - .offset:         8
        .size:           4
        .value_kind:     by_value
    .group_segment_fixed_size: 0
    .kernarg_segment_align: 8
    .kernarg_segment_size: 12
    .language:       OpenCL C
    .language_version:
      - 2
      - 0
    .max_flat_workgroup_size: 256
    .name:           _Z20warp_exchange_kernelILj256ELj16ELj16EN6common25StripedToBlockedShuffleOpEiEvPT3_j
    .private_segment_fixed_size: 80
    .sgpr_count:     10
    .sgpr_spill_count: 0
    .symbol:         _Z20warp_exchange_kernelILj256ELj16ELj16EN6common25StripedToBlockedShuffleOpEiEvPT3_j.kd
    .uniform_work_group_size: 1
    .uses_dynamic_stack: false
    .vgpr_count:     49
    .vgpr_spill_count: 0
    .wavefront_size: 64
  - .agpr_count:     0
    .args:
      - .address_space:  global
        .offset:         0
        .size:           8
        .value_kind:     global_buffer
      - .offset:         8
        .size:           4
        .value_kind:     by_value
    .group_segment_fixed_size: 0
    .kernarg_segment_align: 8
    .kernarg_segment_size: 12
    .language:       OpenCL C
    .language_version:
      - 2
      - 0
    .max_flat_workgroup_size: 256
    .name:           _Z20warp_exchange_kernelILj256ELj16ELj32EN6common25StripedToBlockedShuffleOpEiEvPT3_j
    .private_segment_fixed_size: 0
    .sgpr_count:     86
    .sgpr_spill_count: 0
    .symbol:         _Z20warp_exchange_kernelILj256ELj16ELj32EN6common25StripedToBlockedShuffleOpEiEvPT3_j.kd
    .uniform_work_group_size: 1
    .uses_dynamic_stack: false
    .vgpr_count:     97
    .vgpr_spill_count: 0
    .wavefront_size: 64
  - .agpr_count:     0
    .args:
      - .address_space:  global
        .offset:         0
        .size:           8
        .value_kind:     global_buffer
      - .offset:         8
        .size:           4
        .value_kind:     by_value
    .group_segment_fixed_size: 0
    .kernarg_segment_align: 8
    .kernarg_segment_size: 12
    .language:       OpenCL C
    .language_version:
      - 2
      - 0
    .max_flat_workgroup_size: 256
    .name:           _Z20warp_exchange_kernelILj256ELj32ELj32EN6common25StripedToBlockedShuffleOpEiEvPT3_j
    .private_segment_fixed_size: 144
    .sgpr_count:     16
    .sgpr_spill_count: 0
    .symbol:         _Z20warp_exchange_kernelILj256ELj32ELj32EN6common25StripedToBlockedShuffleOpEiEvPT3_j.kd
    .uniform_work_group_size: 1
    .uses_dynamic_stack: false
    .vgpr_count:     114
    .vgpr_spill_count: 0
    .wavefront_size: 64
  - .agpr_count:     0
    .args:
      - .address_space:  global
        .offset:         0
        .size:           8
        .value_kind:     global_buffer
      - .offset:         8
        .size:           4
        .value_kind:     by_value
    .group_segment_fixed_size: 1024
    .kernarg_segment_align: 8
    .kernarg_segment_size: 12
    .language:       OpenCL C
    .language_version:
      - 2
      - 0
    .max_flat_workgroup_size: 256
    .name:           _Z20warp_exchange_kernelILj256ELj1ELj16E18ScatterToStripedOpiEvPT3_j
    .private_segment_fixed_size: 0
    .sgpr_count:     10
    .sgpr_spill_count: 0
    .symbol:         _Z20warp_exchange_kernelILj256ELj1ELj16E18ScatterToStripedOpiEvPT3_j.kd
    .uniform_work_group_size: 1
    .uses_dynamic_stack: false
    .vgpr_count:     5
    .vgpr_spill_count: 0
    .wavefront_size: 64
  - .agpr_count:     0
    .args:
      - .address_space:  global
        .offset:         0
        .size:           8
        .value_kind:     global_buffer
      - .offset:         8
        .size:           4
        .value_kind:     by_value
    .group_segment_fixed_size: 1024
    .kernarg_segment_align: 8
    .kernarg_segment_size: 12
    .language:       OpenCL C
    .language_version:
      - 2
      - 0
    .max_flat_workgroup_size: 256
    .name:           _Z20warp_exchange_kernelILj256ELj1ELj32E18ScatterToStripedOpiEvPT3_j
    .private_segment_fixed_size: 0
    .sgpr_count:     10
    .sgpr_spill_count: 0
    .symbol:         _Z20warp_exchange_kernelILj256ELj1ELj32E18ScatterToStripedOpiEvPT3_j.kd
    .uniform_work_group_size: 1
    .uses_dynamic_stack: false
    .vgpr_count:     5
    .vgpr_spill_count: 0
    .wavefront_size: 64
  - .agpr_count:     0
    .args:
      - .address_space:  global
        .offset:         0
        .size:           8
        .value_kind:     global_buffer
      - .offset:         8
        .size:           4
        .value_kind:     by_value
    .group_segment_fixed_size: 4096
    .kernarg_segment_align: 8
    .kernarg_segment_size: 12
    .language:       OpenCL C
    .language_version:
      - 2
      - 0
    .max_flat_workgroup_size: 256
    .name:           _Z20warp_exchange_kernelILj256ELj4ELj16E18ScatterToStripedOpiEvPT3_j
    .private_segment_fixed_size: 0
    .sgpr_count:     10
    .sgpr_spill_count: 0
    .symbol:         _Z20warp_exchange_kernelILj256ELj4ELj16E18ScatterToStripedOpiEvPT3_j.kd
    .uniform_work_group_size: 1
    .uses_dynamic_stack: false
    .vgpr_count:     10
    .vgpr_spill_count: 0
    .wavefront_size: 64
  - .agpr_count:     0
    .args:
      - .address_space:  global
        .offset:         0
        .size:           8
        .value_kind:     global_buffer
      - .offset:         8
        .size:           4
        .value_kind:     by_value
    .group_segment_fixed_size: 4096
    .kernarg_segment_align: 8
    .kernarg_segment_size: 12
    .language:       OpenCL C
    .language_version:
      - 2
      - 0
    .max_flat_workgroup_size: 256
    .name:           _Z20warp_exchange_kernelILj256ELj4ELj32E18ScatterToStripedOpiEvPT3_j
    .private_segment_fixed_size: 0
    .sgpr_count:     10
    .sgpr_spill_count: 0
    .symbol:         _Z20warp_exchange_kernelILj256ELj4ELj32E18ScatterToStripedOpiEvPT3_j.kd
    .uniform_work_group_size: 1
    .uses_dynamic_stack: false
    .vgpr_count:     10
    .vgpr_spill_count: 0
    .wavefront_size: 64
  - .agpr_count:     0
    .args:
      - .address_space:  global
        .offset:         0
        .size:           8
        .value_kind:     global_buffer
      - .offset:         8
        .size:           4
        .value_kind:     by_value
    .group_segment_fixed_size: 16384
    .kernarg_segment_align: 8
    .kernarg_segment_size: 12
    .language:       OpenCL C
    .language_version:
      - 2
      - 0
    .max_flat_workgroup_size: 256
    .name:           _Z20warp_exchange_kernelILj256ELj16ELj16E18ScatterToStripedOpiEvPT3_j
    .private_segment_fixed_size: 0
    .sgpr_count:     10
    .sgpr_spill_count: 0
    .symbol:         _Z20warp_exchange_kernelILj256ELj16ELj16E18ScatterToStripedOpiEvPT3_j.kd
    .uniform_work_group_size: 1
    .uses_dynamic_stack: false
    .vgpr_count:     35
    .vgpr_spill_count: 0
    .wavefront_size: 64
  - .agpr_count:     0
    .args:
      - .address_space:  global
        .offset:         0
        .size:           8
        .value_kind:     global_buffer
      - .offset:         8
        .size:           4
        .value_kind:     by_value
    .group_segment_fixed_size: 16384
    .kernarg_segment_align: 8
    .kernarg_segment_size: 12
    .language:       OpenCL C
    .language_version:
      - 2
      - 0
    .max_flat_workgroup_size: 256
    .name:           _Z20warp_exchange_kernelILj256ELj16ELj32E18ScatterToStripedOpiEvPT3_j
    .private_segment_fixed_size: 0
    .sgpr_count:     10
    .sgpr_spill_count: 0
    .symbol:         _Z20warp_exchange_kernelILj256ELj16ELj32E18ScatterToStripedOpiEvPT3_j.kd
    .uniform_work_group_size: 1
    .uses_dynamic_stack: false
    .vgpr_count:     36
    .vgpr_spill_count: 0
    .wavefront_size: 64
  - .agpr_count:     0
    .args:
      - .address_space:  global
        .offset:         0
        .size:           8
        .value_kind:     global_buffer
      - .offset:         8
        .size:           4
        .value_kind:     by_value
    .group_segment_fixed_size: 4096
    .kernarg_segment_align: 8
    .kernarg_segment_size: 12
    .language:       OpenCL C
    .language_version:
      - 2
      - 0
    .max_flat_workgroup_size: 256
    .name:           _Z20warp_exchange_kernelILj256ELj1ELj16EN6common18BlockedToStripedOpEnEvPT3_j
    .private_segment_fixed_size: 0
    .sgpr_count:     11
    .sgpr_spill_count: 0
    .symbol:         _Z20warp_exchange_kernelILj256ELj1ELj16EN6common18BlockedToStripedOpEnEvPT3_j.kd
    .uniform_work_group_size: 1
    .uses_dynamic_stack: false
    .vgpr_count:     7
    .vgpr_spill_count: 0
    .wavefront_size: 64
  - .agpr_count:     0
    .args:
      - .address_space:  global
        .offset:         0
        .size:           8
        .value_kind:     global_buffer
      - .offset:         8
        .size:           4
        .value_kind:     by_value
    .group_segment_fixed_size: 4096
    .kernarg_segment_align: 8
    .kernarg_segment_size: 12
    .language:       OpenCL C
    .language_version:
      - 2
      - 0
    .max_flat_workgroup_size: 256
    .name:           _Z20warp_exchange_kernelILj256ELj1ELj32EN6common18BlockedToStripedOpEnEvPT3_j
    .private_segment_fixed_size: 0
    .sgpr_count:     11
    .sgpr_spill_count: 0
    .symbol:         _Z20warp_exchange_kernelILj256ELj1ELj32EN6common18BlockedToStripedOpEnEvPT3_j.kd
    .uniform_work_group_size: 1
    .uses_dynamic_stack: false
    .vgpr_count:     7
    .vgpr_spill_count: 0
    .wavefront_size: 64
  - .agpr_count:     0
    .args:
      - .address_space:  global
        .offset:         0
        .size:           8
        .value_kind:     global_buffer
      - .offset:         8
        .size:           4
        .value_kind:     by_value
    .group_segment_fixed_size: 16384
    .kernarg_segment_align: 8
    .kernarg_segment_size: 12
    .language:       OpenCL C
    .language_version:
      - 2
      - 0
    .max_flat_workgroup_size: 256
    .name:           _Z20warp_exchange_kernelILj256ELj4ELj16EN6common18BlockedToStripedOpEnEvPT3_j
    .private_segment_fixed_size: 0
    .sgpr_count:     11
    .sgpr_spill_count: 0
    .symbol:         _Z20warp_exchange_kernelILj256ELj4ELj16EN6common18BlockedToStripedOpEnEvPT3_j.kd
    .uniform_work_group_size: 1
    .uses_dynamic_stack: false
    .vgpr_count:     20
    .vgpr_spill_count: 0
    .wavefront_size: 64
  - .agpr_count:     0
    .args:
      - .address_space:  global
        .offset:         0
        .size:           8
        .value_kind:     global_buffer
      - .offset:         8
        .size:           4
        .value_kind:     by_value
    .group_segment_fixed_size: 16384
    .kernarg_segment_align: 8
    .kernarg_segment_size: 12
    .language:       OpenCL C
    .language_version:
      - 2
      - 0
    .max_flat_workgroup_size: 256
    .name:           _Z20warp_exchange_kernelILj256ELj4ELj32EN6common18BlockedToStripedOpEnEvPT3_j
    .private_segment_fixed_size: 0
    .sgpr_count:     11
    .sgpr_spill_count: 0
    .symbol:         _Z20warp_exchange_kernelILj256ELj4ELj32EN6common18BlockedToStripedOpEnEvPT3_j.kd
    .uniform_work_group_size: 1
    .uses_dynamic_stack: false
    .vgpr_count:     20
    .vgpr_spill_count: 0
    .wavefront_size: 64
  - .agpr_count:     0
    .args:
      - .address_space:  global
        .offset:         0
        .size:           8
        .value_kind:     global_buffer
      - .offset:         8
        .size:           4
        .value_kind:     by_value
    .group_segment_fixed_size: 65536
    .kernarg_segment_align: 8
    .kernarg_segment_size: 12
    .language:       OpenCL C
    .language_version:
      - 2
      - 0
    .max_flat_workgroup_size: 256
    .name:           _Z20warp_exchange_kernelILj256ELj16ELj16EN6common18BlockedToStripedOpEnEvPT3_j
    .private_segment_fixed_size: 0
    .sgpr_count:     11
    .sgpr_spill_count: 0
    .symbol:         _Z20warp_exchange_kernelILj256ELj16ELj16EN6common18BlockedToStripedOpEnEvPT3_j.kd
    .uniform_work_group_size: 1
    .uses_dynamic_stack: false
    .vgpr_count:     68
    .vgpr_spill_count: 0
    .wavefront_size: 64
  - .agpr_count:     0
    .args:
      - .address_space:  global
        .offset:         0
        .size:           8
        .value_kind:     global_buffer
      - .offset:         8
        .size:           4
        .value_kind:     by_value
    .group_segment_fixed_size: 65536
    .kernarg_segment_align: 8
    .kernarg_segment_size: 12
    .language:       OpenCL C
    .language_version:
      - 2
      - 0
    .max_flat_workgroup_size: 256
    .name:           _Z20warp_exchange_kernelILj256ELj16ELj32EN6common18BlockedToStripedOpEnEvPT3_j
    .private_segment_fixed_size: 0
    .sgpr_count:     11
    .sgpr_spill_count: 0
    .symbol:         _Z20warp_exchange_kernelILj256ELj16ELj32EN6common18BlockedToStripedOpEnEvPT3_j.kd
    .uniform_work_group_size: 1
    .uses_dynamic_stack: false
    .vgpr_count:     68
    .vgpr_spill_count: 0
    .wavefront_size: 64
  - .agpr_count:     0
    .args:
      - .address_space:  global
        .offset:         0
        .size:           8
        .value_kind:     global_buffer
      - .offset:         8
        .size:           4
        .value_kind:     by_value
    .group_segment_fixed_size: 4096
    .kernarg_segment_align: 8
    .kernarg_segment_size: 12
    .language:       OpenCL C
    .language_version:
      - 2
      - 0
    .max_flat_workgroup_size: 256
    .name:           _Z20warp_exchange_kernelILj256ELj1ELj16EN6common18StripedToBlockedOpEnEvPT3_j
    .private_segment_fixed_size: 0
    .sgpr_count:     11
    .sgpr_spill_count: 0
    .symbol:         _Z20warp_exchange_kernelILj256ELj1ELj16EN6common18StripedToBlockedOpEnEvPT3_j.kd
    .uniform_work_group_size: 1
    .uses_dynamic_stack: false
    .vgpr_count:     7
    .vgpr_spill_count: 0
    .wavefront_size: 64
  - .agpr_count:     0
    .args:
      - .address_space:  global
        .offset:         0
        .size:           8
        .value_kind:     global_buffer
      - .offset:         8
        .size:           4
        .value_kind:     by_value
    .group_segment_fixed_size: 4096
    .kernarg_segment_align: 8
    .kernarg_segment_size: 12
    .language:       OpenCL C
    .language_version:
      - 2
      - 0
    .max_flat_workgroup_size: 256
    .name:           _Z20warp_exchange_kernelILj256ELj1ELj32EN6common18StripedToBlockedOpEnEvPT3_j
    .private_segment_fixed_size: 0
    .sgpr_count:     11
    .sgpr_spill_count: 0
    .symbol:         _Z20warp_exchange_kernelILj256ELj1ELj32EN6common18StripedToBlockedOpEnEvPT3_j.kd
    .uniform_work_group_size: 1
    .uses_dynamic_stack: false
    .vgpr_count:     7
    .vgpr_spill_count: 0
    .wavefront_size: 64
  - .agpr_count:     0
    .args:
      - .address_space:  global
        .offset:         0
        .size:           8
        .value_kind:     global_buffer
      - .offset:         8
        .size:           4
        .value_kind:     by_value
    .group_segment_fixed_size: 16384
    .kernarg_segment_align: 8
    .kernarg_segment_size: 12
    .language:       OpenCL C
    .language_version:
      - 2
      - 0
    .max_flat_workgroup_size: 256
    .name:           _Z20warp_exchange_kernelILj256ELj4ELj16EN6common18StripedToBlockedOpEnEvPT3_j
    .private_segment_fixed_size: 0
    .sgpr_count:     11
    .sgpr_spill_count: 0
    .symbol:         _Z20warp_exchange_kernelILj256ELj4ELj16EN6common18StripedToBlockedOpEnEvPT3_j.kd
    .uniform_work_group_size: 1
    .uses_dynamic_stack: false
    .vgpr_count:     20
    .vgpr_spill_count: 0
    .wavefront_size: 64
  - .agpr_count:     0
    .args:
      - .address_space:  global
        .offset:         0
        .size:           8
        .value_kind:     global_buffer
      - .offset:         8
        .size:           4
        .value_kind:     by_value
    .group_segment_fixed_size: 16384
    .kernarg_segment_align: 8
    .kernarg_segment_size: 12
    .language:       OpenCL C
    .language_version:
      - 2
      - 0
    .max_flat_workgroup_size: 256
    .name:           _Z20warp_exchange_kernelILj256ELj4ELj32EN6common18StripedToBlockedOpEnEvPT3_j
    .private_segment_fixed_size: 0
    .sgpr_count:     11
    .sgpr_spill_count: 0
    .symbol:         _Z20warp_exchange_kernelILj256ELj4ELj32EN6common18StripedToBlockedOpEnEvPT3_j.kd
    .uniform_work_group_size: 1
    .uses_dynamic_stack: false
    .vgpr_count:     20
    .vgpr_spill_count: 0
    .wavefront_size: 64
  - .agpr_count:     0
    .args:
      - .address_space:  global
        .offset:         0
        .size:           8
        .value_kind:     global_buffer
      - .offset:         8
        .size:           4
        .value_kind:     by_value
    .group_segment_fixed_size: 65536
    .kernarg_segment_align: 8
    .kernarg_segment_size: 12
    .language:       OpenCL C
    .language_version:
      - 2
      - 0
    .max_flat_workgroup_size: 256
    .name:           _Z20warp_exchange_kernelILj256ELj16ELj16EN6common18StripedToBlockedOpEnEvPT3_j
    .private_segment_fixed_size: 0
    .sgpr_count:     11
    .sgpr_spill_count: 0
    .symbol:         _Z20warp_exchange_kernelILj256ELj16ELj16EN6common18StripedToBlockedOpEnEvPT3_j.kd
    .uniform_work_group_size: 1
    .uses_dynamic_stack: false
    .vgpr_count:     68
    .vgpr_spill_count: 0
    .wavefront_size: 64
  - .agpr_count:     0
    .args:
      - .address_space:  global
        .offset:         0
        .size:           8
        .value_kind:     global_buffer
      - .offset:         8
        .size:           4
        .value_kind:     by_value
    .group_segment_fixed_size: 65536
    .kernarg_segment_align: 8
    .kernarg_segment_size: 12
    .language:       OpenCL C
    .language_version:
      - 2
      - 0
    .max_flat_workgroup_size: 256
    .name:           _Z20warp_exchange_kernelILj256ELj16ELj32EN6common18StripedToBlockedOpEnEvPT3_j
    .private_segment_fixed_size: 0
    .sgpr_count:     11
    .sgpr_spill_count: 0
    .symbol:         _Z20warp_exchange_kernelILj256ELj16ELj32EN6common18StripedToBlockedOpEnEvPT3_j.kd
    .uniform_work_group_size: 1
    .uses_dynamic_stack: false
    .vgpr_count:     68
    .vgpr_spill_count: 0
    .wavefront_size: 64
  - .agpr_count:     0
    .args:
      - .address_space:  global
        .offset:         0
        .size:           8
        .value_kind:     global_buffer
      - .offset:         8
        .size:           4
        .value_kind:     by_value
    .group_segment_fixed_size: 0
    .kernarg_segment_align: 8
    .kernarg_segment_size: 12
    .language:       OpenCL C
    .language_version:
      - 2
      - 0
    .max_flat_workgroup_size: 256
    .name:           _Z20warp_exchange_kernelILj256ELj1ELj16EN6common25BlockedToStripedShuffleOpEnEvPT3_j
    .private_segment_fixed_size: 0
    .sgpr_count:     10
    .sgpr_spill_count: 0
    .symbol:         _Z20warp_exchange_kernelILj256ELj1ELj16EN6common25BlockedToStripedShuffleOpEnEvPT3_j.kd
    .uniform_work_group_size: 1
    .uses_dynamic_stack: false
    .vgpr_count:     6
    .vgpr_spill_count: 0
    .wavefront_size: 64
  - .agpr_count:     0
    .args:
      - .address_space:  global
        .offset:         0
        .size:           8
        .value_kind:     global_buffer
      - .offset:         8
        .size:           4
        .value_kind:     by_value
    .group_segment_fixed_size: 0
    .kernarg_segment_align: 8
    .kernarg_segment_size: 12
    .language:       OpenCL C
    .language_version:
      - 2
      - 0
    .max_flat_workgroup_size: 256
    .name:           _Z20warp_exchange_kernelILj256ELj1ELj32EN6common25BlockedToStripedShuffleOpEnEvPT3_j
    .private_segment_fixed_size: 0
    .sgpr_count:     10
    .sgpr_spill_count: 0
    .symbol:         _Z20warp_exchange_kernelILj256ELj1ELj32EN6common25BlockedToStripedShuffleOpEnEvPT3_j.kd
    .uniform_work_group_size: 1
    .uses_dynamic_stack: false
    .vgpr_count:     6
    .vgpr_spill_count: 0
    .wavefront_size: 64
  - .agpr_count:     0
    .args:
      - .address_space:  global
        .offset:         0
        .size:           8
        .value_kind:     global_buffer
      - .offset:         8
        .size:           4
        .value_kind:     by_value
    .group_segment_fixed_size: 0
    .kernarg_segment_align: 8
    .kernarg_segment_size: 12
    .language:       OpenCL C
    .language_version:
      - 2
      - 0
    .max_flat_workgroup_size: 256
    .name:           _Z20warp_exchange_kernelILj256ELj4ELj16EN6common25BlockedToStripedShuffleOpEnEvPT3_j
    .private_segment_fixed_size: 0
    .sgpr_count:     58
    .sgpr_spill_count: 0
    .symbol:         _Z20warp_exchange_kernelILj256ELj4ELj16EN6common25BlockedToStripedShuffleOpEnEvPT3_j.kd
    .uniform_work_group_size: 1
    .uses_dynamic_stack: false
    .vgpr_count:     32
    .vgpr_spill_count: 0
    .wavefront_size: 64
  - .agpr_count:     0
    .args:
      - .address_space:  global
        .offset:         0
        .size:           8
        .value_kind:     global_buffer
      - .offset:         8
        .size:           4
        .value_kind:     by_value
    .group_segment_fixed_size: 0
    .kernarg_segment_align: 8
    .kernarg_segment_size: 12
    .language:       OpenCL C
    .language_version:
      - 2
      - 0
    .max_flat_workgroup_size: 256
    .name:           _Z20warp_exchange_kernelILj256ELj4ELj32EN6common25BlockedToStripedShuffleOpEnEvPT3_j
    .private_segment_fixed_size: 0
    .sgpr_count:     18
    .sgpr_spill_count: 0
    .symbol:         _Z20warp_exchange_kernelILj256ELj4ELj32EN6common25BlockedToStripedShuffleOpEnEvPT3_j.kd
    .uniform_work_group_size: 1
    .uses_dynamic_stack: false
    .vgpr_count:     37
    .vgpr_spill_count: 0
    .wavefront_size: 64
  - .agpr_count:     0
    .args:
      - .address_space:  global
        .offset:         0
        .size:           8
        .value_kind:     global_buffer
      - .offset:         8
        .size:           4
        .value_kind:     by_value
    .group_segment_fixed_size: 0
    .kernarg_segment_align: 8
    .kernarg_segment_size: 12
    .language:       OpenCL C
    .language_version:
      - 2
      - 0
    .max_flat_workgroup_size: 256
    .name:           _Z20warp_exchange_kernelILj256ELj16ELj16EN6common25BlockedToStripedShuffleOpEnEvPT3_j
    .private_segment_fixed_size: 272
    .sgpr_count:     12
    .sgpr_spill_count: 0
    .symbol:         _Z20warp_exchange_kernelILj256ELj16ELj16EN6common25BlockedToStripedShuffleOpEnEvPT3_j.kd
    .uniform_work_group_size: 1
    .uses_dynamic_stack: false
    .vgpr_count:     102
    .vgpr_spill_count: 0
    .wavefront_size: 64
  - .agpr_count:     0
    .args:
      - .address_space:  global
        .offset:         0
        .size:           8
        .value_kind:     global_buffer
      - .offset:         8
        .size:           4
        .value_kind:     by_value
    .group_segment_fixed_size: 0
    .kernarg_segment_align: 8
    .kernarg_segment_size: 12
    .language:       OpenCL C
    .language_version:
      - 2
      - 0
    .max_flat_workgroup_size: 256
    .name:           _Z20warp_exchange_kernelILj256ELj16ELj32EN6common25BlockedToStripedShuffleOpEnEvPT3_j
    .private_segment_fixed_size: 528
    .sgpr_count:     10
    .sgpr_spill_count: 0
    .symbol:         _Z20warp_exchange_kernelILj256ELj16ELj32EN6common25BlockedToStripedShuffleOpEnEvPT3_j.kd
    .uniform_work_group_size: 1
    .uses_dynamic_stack: false
    .vgpr_count:     106
    .vgpr_spill_count: 0
    .wavefront_size: 64
  - .agpr_count:     0
    .args:
      - .address_space:  global
        .offset:         0
        .size:           8
        .value_kind:     global_buffer
      - .offset:         8
        .size:           4
        .value_kind:     by_value
    .group_segment_fixed_size: 0
    .kernarg_segment_align: 8
    .kernarg_segment_size: 12
    .language:       OpenCL C
    .language_version:
      - 2
      - 0
    .max_flat_workgroup_size: 256
    .name:           _Z20warp_exchange_kernelILj256ELj1ELj16EN6common25StripedToBlockedShuffleOpEnEvPT3_j
    .private_segment_fixed_size: 0
    .sgpr_count:     10
    .sgpr_spill_count: 0
    .symbol:         _Z20warp_exchange_kernelILj256ELj1ELj16EN6common25StripedToBlockedShuffleOpEnEvPT3_j.kd
    .uniform_work_group_size: 1
    .uses_dynamic_stack: false
    .vgpr_count:     6
    .vgpr_spill_count: 0
    .wavefront_size: 64
  - .agpr_count:     0
    .args:
      - .address_space:  global
        .offset:         0
        .size:           8
        .value_kind:     global_buffer
      - .offset:         8
        .size:           4
        .value_kind:     by_value
    .group_segment_fixed_size: 0
    .kernarg_segment_align: 8
    .kernarg_segment_size: 12
    .language:       OpenCL C
    .language_version:
      - 2
      - 0
    .max_flat_workgroup_size: 256
    .name:           _Z20warp_exchange_kernelILj256ELj1ELj32EN6common25StripedToBlockedShuffleOpEnEvPT3_j
    .private_segment_fixed_size: 0
    .sgpr_count:     10
    .sgpr_spill_count: 0
    .symbol:         _Z20warp_exchange_kernelILj256ELj1ELj32EN6common25StripedToBlockedShuffleOpEnEvPT3_j.kd
    .uniform_work_group_size: 1
    .uses_dynamic_stack: false
    .vgpr_count:     6
    .vgpr_spill_count: 0
    .wavefront_size: 64
  - .agpr_count:     0
    .args:
      - .address_space:  global
        .offset:         0
        .size:           8
        .value_kind:     global_buffer
      - .offset:         8
        .size:           4
        .value_kind:     by_value
    .group_segment_fixed_size: 0
    .kernarg_segment_align: 8
    .kernarg_segment_size: 12
    .language:       OpenCL C
    .language_version:
      - 2
      - 0
    .max_flat_workgroup_size: 256
    .name:           _Z20warp_exchange_kernelILj256ELj4ELj16EN6common25StripedToBlockedShuffleOpEnEvPT3_j
    .private_segment_fixed_size: 144
    .sgpr_count:     10
    .sgpr_spill_count: 0
    .symbol:         _Z20warp_exchange_kernelILj256ELj4ELj16EN6common25StripedToBlockedShuffleOpEnEvPT3_j.kd
    .uniform_work_group_size: 1
    .uses_dynamic_stack: false
    .vgpr_count:     34
    .vgpr_spill_count: 0
    .wavefront_size: 64
  - .agpr_count:     0
    .args:
      - .address_space:  global
        .offset:         0
        .size:           8
        .value_kind:     global_buffer
      - .offset:         8
        .size:           4
        .value_kind:     by_value
    .group_segment_fixed_size: 0
    .kernarg_segment_align: 8
    .kernarg_segment_size: 12
    .language:       OpenCL C
    .language_version:
      - 2
      - 0
    .max_flat_workgroup_size: 256
    .name:           _Z20warp_exchange_kernelILj256ELj4ELj32EN6common25StripedToBlockedShuffleOpEnEvPT3_j
    .private_segment_fixed_size: 0
    .sgpr_count:     18
    .sgpr_spill_count: 0
    .symbol:         _Z20warp_exchange_kernelILj256ELj4ELj32EN6common25StripedToBlockedShuffleOpEnEvPT3_j.kd
    .uniform_work_group_size: 1
    .uses_dynamic_stack: false
    .vgpr_count:     37
    .vgpr_spill_count: 0
    .wavefront_size: 64
  - .agpr_count:     0
    .args:
      - .address_space:  global
        .offset:         0
        .size:           8
        .value_kind:     global_buffer
      - .offset:         8
        .size:           4
        .value_kind:     by_value
    .group_segment_fixed_size: 0
    .kernarg_segment_align: 8
    .kernarg_segment_size: 12
    .language:       OpenCL C
    .language_version:
      - 2
      - 0
    .max_flat_workgroup_size: 256
    .name:           _Z20warp_exchange_kernelILj256ELj16ELj16EN6common25StripedToBlockedShuffleOpEnEvPT3_j
    .private_segment_fixed_size: 272
    .sgpr_count:     12
    .sgpr_spill_count: 0
    .symbol:         _Z20warp_exchange_kernelILj256ELj16ELj16EN6common25StripedToBlockedShuffleOpEnEvPT3_j.kd
    .uniform_work_group_size: 1
    .uses_dynamic_stack: false
    .vgpr_count:     102
    .vgpr_spill_count: 0
    .wavefront_size: 64
  - .agpr_count:     0
    .args:
      - .address_space:  global
        .offset:         0
        .size:           8
        .value_kind:     global_buffer
      - .offset:         8
        .size:           4
        .value_kind:     by_value
    .group_segment_fixed_size: 0
    .kernarg_segment_align: 8
    .kernarg_segment_size: 12
    .language:       OpenCL C
    .language_version:
      - 2
      - 0
    .max_flat_workgroup_size: 256
    .name:           _Z20warp_exchange_kernelILj256ELj16ELj32EN6common25StripedToBlockedShuffleOpEnEvPT3_j
    .private_segment_fixed_size: 528
    .sgpr_count:     10
    .sgpr_spill_count: 0
    .symbol:         _Z20warp_exchange_kernelILj256ELj16ELj32EN6common25StripedToBlockedShuffleOpEnEvPT3_j.kd
    .uniform_work_group_size: 1
    .uses_dynamic_stack: false
    .vgpr_count:     114
    .vgpr_spill_count: 0
    .wavefront_size: 64
  - .agpr_count:     0
    .args:
      - .address_space:  global
        .offset:         0
        .size:           8
        .value_kind:     global_buffer
      - .offset:         8
        .size:           4
        .value_kind:     by_value
    .group_segment_fixed_size: 4096
    .kernarg_segment_align: 8
    .kernarg_segment_size: 12
    .language:       OpenCL C
    .language_version:
      - 2
      - 0
    .max_flat_workgroup_size: 256
    .name:           _Z20warp_exchange_kernelILj256ELj1ELj16E18ScatterToStripedOpnEvPT3_j
    .private_segment_fixed_size: 0
    .sgpr_count:     10
    .sgpr_spill_count: 0
    .symbol:         _Z20warp_exchange_kernelILj256ELj1ELj16E18ScatterToStripedOpnEvPT3_j.kd
    .uniform_work_group_size: 1
    .uses_dynamic_stack: false
    .vgpr_count:     8
    .vgpr_spill_count: 0
    .wavefront_size: 64
  - .agpr_count:     0
    .args:
      - .address_space:  global
        .offset:         0
        .size:           8
        .value_kind:     global_buffer
      - .offset:         8
        .size:           4
        .value_kind:     by_value
    .group_segment_fixed_size: 4096
    .kernarg_segment_align: 8
    .kernarg_segment_size: 12
    .language:       OpenCL C
    .language_version:
      - 2
      - 0
    .max_flat_workgroup_size: 256
    .name:           _Z20warp_exchange_kernelILj256ELj1ELj32E18ScatterToStripedOpnEvPT3_j
    .private_segment_fixed_size: 0
    .sgpr_count:     10
    .sgpr_spill_count: 0
    .symbol:         _Z20warp_exchange_kernelILj256ELj1ELj32E18ScatterToStripedOpnEvPT3_j.kd
    .uniform_work_group_size: 1
    .uses_dynamic_stack: false
    .vgpr_count:     8
    .vgpr_spill_count: 0
    .wavefront_size: 64
  - .agpr_count:     0
    .args:
      - .address_space:  global
        .offset:         0
        .size:           8
        .value_kind:     global_buffer
      - .offset:         8
        .size:           4
        .value_kind:     by_value
    .group_segment_fixed_size: 16384
    .kernarg_segment_align: 8
    .kernarg_segment_size: 12
    .language:       OpenCL C
    .language_version:
      - 2
      - 0
    .max_flat_workgroup_size: 256
    .name:           _Z20warp_exchange_kernelILj256ELj4ELj16E18ScatterToStripedOpnEvPT3_j
    .private_segment_fixed_size: 0
    .sgpr_count:     10
    .sgpr_spill_count: 0
    .symbol:         _Z20warp_exchange_kernelILj256ELj4ELj16E18ScatterToStripedOpnEvPT3_j.kd
    .uniform_work_group_size: 1
    .uses_dynamic_stack: false
    .vgpr_count:     21
    .vgpr_spill_count: 0
    .wavefront_size: 64
  - .agpr_count:     0
    .args:
      - .address_space:  global
        .offset:         0
        .size:           8
        .value_kind:     global_buffer
      - .offset:         8
        .size:           4
        .value_kind:     by_value
    .group_segment_fixed_size: 16384
    .kernarg_segment_align: 8
    .kernarg_segment_size: 12
    .language:       OpenCL C
    .language_version:
      - 2
      - 0
    .max_flat_workgroup_size: 256
    .name:           _Z20warp_exchange_kernelILj256ELj4ELj32E18ScatterToStripedOpnEvPT3_j
    .private_segment_fixed_size: 0
    .sgpr_count:     10
    .sgpr_spill_count: 0
    .symbol:         _Z20warp_exchange_kernelILj256ELj4ELj32E18ScatterToStripedOpnEvPT3_j.kd
    .uniform_work_group_size: 1
    .uses_dynamic_stack: false
    .vgpr_count:     21
    .vgpr_spill_count: 0
    .wavefront_size: 64
  - .agpr_count:     0
    .args:
      - .address_space:  global
        .offset:         0
        .size:           8
        .value_kind:     global_buffer
      - .offset:         8
        .size:           4
        .value_kind:     by_value
    .group_segment_fixed_size: 65536
    .kernarg_segment_align: 8
    .kernarg_segment_size: 12
    .language:       OpenCL C
    .language_version:
      - 2
      - 0
    .max_flat_workgroup_size: 256
    .name:           _Z20warp_exchange_kernelILj256ELj16ELj16E18ScatterToStripedOpnEvPT3_j
    .private_segment_fixed_size: 0
    .sgpr_count:     10
    .sgpr_spill_count: 0
    .symbol:         _Z20warp_exchange_kernelILj256ELj16ELj16E18ScatterToStripedOpnEvPT3_j.kd
    .uniform_work_group_size: 1
    .uses_dynamic_stack: false
    .vgpr_count:     69
    .vgpr_spill_count: 0
    .wavefront_size: 64
  - .agpr_count:     0
    .args:
      - .address_space:  global
        .offset:         0
        .size:           8
        .value_kind:     global_buffer
      - .offset:         8
        .size:           4
        .value_kind:     by_value
    .group_segment_fixed_size: 65536
    .kernarg_segment_align: 8
    .kernarg_segment_size: 12
    .language:       OpenCL C
    .language_version:
      - 2
      - 0
    .max_flat_workgroup_size: 256
    .name:           _Z20warp_exchange_kernelILj256ELj16ELj32E18ScatterToStripedOpnEvPT3_j
    .private_segment_fixed_size: 0
    .sgpr_count:     10
    .sgpr_spill_count: 0
    .symbol:         _Z20warp_exchange_kernelILj256ELj16ELj32E18ScatterToStripedOpnEvPT3_j.kd
    .uniform_work_group_size: 1
    .uses_dynamic_stack: false
    .vgpr_count:     69
    .vgpr_spill_count: 0
    .wavefront_size: 64
  - .agpr_count:     0
    .args:
      - .address_space:  global
        .offset:         0
        .size:           8
        .value_kind:     global_buffer
      - .offset:         8
        .size:           4
        .value_kind:     by_value
    .group_segment_fixed_size: 4096
    .kernarg_segment_align: 8
    .kernarg_segment_size: 12
    .language:       OpenCL C
    .language_version:
      - 2
      - 0
    .max_flat_workgroup_size: 256
    .name:           _Z20warp_exchange_kernelILj256ELj1ELj16EN6common18BlockedToStripedOpEoEvPT3_j
    .private_segment_fixed_size: 0
    .sgpr_count:     11
    .sgpr_spill_count: 0
    .symbol:         _Z20warp_exchange_kernelILj256ELj1ELj16EN6common18BlockedToStripedOpEoEvPT3_j.kd
    .uniform_work_group_size: 1
    .uses_dynamic_stack: false
    .vgpr_count:     7
    .vgpr_spill_count: 0
    .wavefront_size: 64
  - .agpr_count:     0
    .args:
      - .address_space:  global
        .offset:         0
        .size:           8
        .value_kind:     global_buffer
      - .offset:         8
        .size:           4
        .value_kind:     by_value
    .group_segment_fixed_size: 4096
    .kernarg_segment_align: 8
    .kernarg_segment_size: 12
    .language:       OpenCL C
    .language_version:
      - 2
      - 0
    .max_flat_workgroup_size: 256
    .name:           _Z20warp_exchange_kernelILj256ELj1ELj32EN6common18BlockedToStripedOpEoEvPT3_j
    .private_segment_fixed_size: 0
    .sgpr_count:     11
    .sgpr_spill_count: 0
    .symbol:         _Z20warp_exchange_kernelILj256ELj1ELj32EN6common18BlockedToStripedOpEoEvPT3_j.kd
    .uniform_work_group_size: 1
    .uses_dynamic_stack: false
    .vgpr_count:     7
    .vgpr_spill_count: 0
    .wavefront_size: 64
  - .agpr_count:     0
    .args:
      - .address_space:  global
        .offset:         0
        .size:           8
        .value_kind:     global_buffer
      - .offset:         8
        .size:           4
        .value_kind:     by_value
    .group_segment_fixed_size: 16384
    .kernarg_segment_align: 8
    .kernarg_segment_size: 12
    .language:       OpenCL C
    .language_version:
      - 2
      - 0
    .max_flat_workgroup_size: 256
    .name:           _Z20warp_exchange_kernelILj256ELj4ELj16EN6common18BlockedToStripedOpEoEvPT3_j
    .private_segment_fixed_size: 0
    .sgpr_count:     11
    .sgpr_spill_count: 0
    .symbol:         _Z20warp_exchange_kernelILj256ELj4ELj16EN6common18BlockedToStripedOpEoEvPT3_j.kd
    .uniform_work_group_size: 1
    .uses_dynamic_stack: false
    .vgpr_count:     20
    .vgpr_spill_count: 0
    .wavefront_size: 64
  - .agpr_count:     0
    .args:
      - .address_space:  global
        .offset:         0
        .size:           8
        .value_kind:     global_buffer
      - .offset:         8
        .size:           4
        .value_kind:     by_value
    .group_segment_fixed_size: 16384
    .kernarg_segment_align: 8
    .kernarg_segment_size: 12
    .language:       OpenCL C
    .language_version:
      - 2
      - 0
    .max_flat_workgroup_size: 256
    .name:           _Z20warp_exchange_kernelILj256ELj4ELj32EN6common18BlockedToStripedOpEoEvPT3_j
    .private_segment_fixed_size: 0
    .sgpr_count:     11
    .sgpr_spill_count: 0
    .symbol:         _Z20warp_exchange_kernelILj256ELj4ELj32EN6common18BlockedToStripedOpEoEvPT3_j.kd
    .uniform_work_group_size: 1
    .uses_dynamic_stack: false
    .vgpr_count:     20
    .vgpr_spill_count: 0
    .wavefront_size: 64
  - .agpr_count:     0
    .args:
      - .address_space:  global
        .offset:         0
        .size:           8
        .value_kind:     global_buffer
      - .offset:         8
        .size:           4
        .value_kind:     by_value
    .group_segment_fixed_size: 65536
    .kernarg_segment_align: 8
    .kernarg_segment_size: 12
    .language:       OpenCL C
    .language_version:
      - 2
      - 0
    .max_flat_workgroup_size: 256
    .name:           _Z20warp_exchange_kernelILj256ELj16ELj16EN6common18BlockedToStripedOpEoEvPT3_j
    .private_segment_fixed_size: 0
    .sgpr_count:     11
    .sgpr_spill_count: 0
    .symbol:         _Z20warp_exchange_kernelILj256ELj16ELj16EN6common18BlockedToStripedOpEoEvPT3_j.kd
    .uniform_work_group_size: 1
    .uses_dynamic_stack: false
    .vgpr_count:     68
    .vgpr_spill_count: 0
    .wavefront_size: 64
  - .agpr_count:     0
    .args:
      - .address_space:  global
        .offset:         0
        .size:           8
        .value_kind:     global_buffer
      - .offset:         8
        .size:           4
        .value_kind:     by_value
    .group_segment_fixed_size: 65536
    .kernarg_segment_align: 8
    .kernarg_segment_size: 12
    .language:       OpenCL C
    .language_version:
      - 2
      - 0
    .max_flat_workgroup_size: 256
    .name:           _Z20warp_exchange_kernelILj256ELj16ELj32EN6common18BlockedToStripedOpEoEvPT3_j
    .private_segment_fixed_size: 0
    .sgpr_count:     11
    .sgpr_spill_count: 0
    .symbol:         _Z20warp_exchange_kernelILj256ELj16ELj32EN6common18BlockedToStripedOpEoEvPT3_j.kd
    .uniform_work_group_size: 1
    .uses_dynamic_stack: false
    .vgpr_count:     68
    .vgpr_spill_count: 0
    .wavefront_size: 64
  - .agpr_count:     0
    .args:
      - .address_space:  global
        .offset:         0
        .size:           8
        .value_kind:     global_buffer
      - .offset:         8
        .size:           4
        .value_kind:     by_value
    .group_segment_fixed_size: 4096
    .kernarg_segment_align: 8
    .kernarg_segment_size: 12
    .language:       OpenCL C
    .language_version:
      - 2
      - 0
    .max_flat_workgroup_size: 256
    .name:           _Z20warp_exchange_kernelILj256ELj1ELj16EN6common18StripedToBlockedOpEoEvPT3_j
    .private_segment_fixed_size: 0
    .sgpr_count:     11
    .sgpr_spill_count: 0
    .symbol:         _Z20warp_exchange_kernelILj256ELj1ELj16EN6common18StripedToBlockedOpEoEvPT3_j.kd
    .uniform_work_group_size: 1
    .uses_dynamic_stack: false
    .vgpr_count:     7
    .vgpr_spill_count: 0
    .wavefront_size: 64
  - .agpr_count:     0
    .args:
      - .address_space:  global
        .offset:         0
        .size:           8
        .value_kind:     global_buffer
      - .offset:         8
        .size:           4
        .value_kind:     by_value
    .group_segment_fixed_size: 4096
    .kernarg_segment_align: 8
    .kernarg_segment_size: 12
    .language:       OpenCL C
    .language_version:
      - 2
      - 0
    .max_flat_workgroup_size: 256
    .name:           _Z20warp_exchange_kernelILj256ELj1ELj32EN6common18StripedToBlockedOpEoEvPT3_j
    .private_segment_fixed_size: 0
    .sgpr_count:     11
    .sgpr_spill_count: 0
    .symbol:         _Z20warp_exchange_kernelILj256ELj1ELj32EN6common18StripedToBlockedOpEoEvPT3_j.kd
    .uniform_work_group_size: 1
    .uses_dynamic_stack: false
    .vgpr_count:     7
    .vgpr_spill_count: 0
    .wavefront_size: 64
  - .agpr_count:     0
    .args:
      - .address_space:  global
        .offset:         0
        .size:           8
        .value_kind:     global_buffer
      - .offset:         8
        .size:           4
        .value_kind:     by_value
    .group_segment_fixed_size: 16384
    .kernarg_segment_align: 8
    .kernarg_segment_size: 12
    .language:       OpenCL C
    .language_version:
      - 2
      - 0
    .max_flat_workgroup_size: 256
    .name:           _Z20warp_exchange_kernelILj256ELj4ELj16EN6common18StripedToBlockedOpEoEvPT3_j
    .private_segment_fixed_size: 0
    .sgpr_count:     11
    .sgpr_spill_count: 0
    .symbol:         _Z20warp_exchange_kernelILj256ELj4ELj16EN6common18StripedToBlockedOpEoEvPT3_j.kd
    .uniform_work_group_size: 1
    .uses_dynamic_stack: false
    .vgpr_count:     20
    .vgpr_spill_count: 0
    .wavefront_size: 64
  - .agpr_count:     0
    .args:
      - .address_space:  global
        .offset:         0
        .size:           8
        .value_kind:     global_buffer
      - .offset:         8
        .size:           4
        .value_kind:     by_value
    .group_segment_fixed_size: 16384
    .kernarg_segment_align: 8
    .kernarg_segment_size: 12
    .language:       OpenCL C
    .language_version:
      - 2
      - 0
    .max_flat_workgroup_size: 256
    .name:           _Z20warp_exchange_kernelILj256ELj4ELj32EN6common18StripedToBlockedOpEoEvPT3_j
    .private_segment_fixed_size: 0
    .sgpr_count:     11
    .sgpr_spill_count: 0
    .symbol:         _Z20warp_exchange_kernelILj256ELj4ELj32EN6common18StripedToBlockedOpEoEvPT3_j.kd
    .uniform_work_group_size: 1
    .uses_dynamic_stack: false
    .vgpr_count:     20
    .vgpr_spill_count: 0
    .wavefront_size: 64
  - .agpr_count:     0
    .args:
      - .address_space:  global
        .offset:         0
        .size:           8
        .value_kind:     global_buffer
      - .offset:         8
        .size:           4
        .value_kind:     by_value
    .group_segment_fixed_size: 65536
    .kernarg_segment_align: 8
    .kernarg_segment_size: 12
    .language:       OpenCL C
    .language_version:
      - 2
      - 0
    .max_flat_workgroup_size: 256
    .name:           _Z20warp_exchange_kernelILj256ELj16ELj16EN6common18StripedToBlockedOpEoEvPT3_j
    .private_segment_fixed_size: 0
    .sgpr_count:     11
    .sgpr_spill_count: 0
    .symbol:         _Z20warp_exchange_kernelILj256ELj16ELj16EN6common18StripedToBlockedOpEoEvPT3_j.kd
    .uniform_work_group_size: 1
    .uses_dynamic_stack: false
    .vgpr_count:     68
    .vgpr_spill_count: 0
    .wavefront_size: 64
  - .agpr_count:     0
    .args:
      - .address_space:  global
        .offset:         0
        .size:           8
        .value_kind:     global_buffer
      - .offset:         8
        .size:           4
        .value_kind:     by_value
    .group_segment_fixed_size: 65536
    .kernarg_segment_align: 8
    .kernarg_segment_size: 12
    .language:       OpenCL C
    .language_version:
      - 2
      - 0
    .max_flat_workgroup_size: 256
    .name:           _Z20warp_exchange_kernelILj256ELj16ELj32EN6common18StripedToBlockedOpEoEvPT3_j
    .private_segment_fixed_size: 0
    .sgpr_count:     11
    .sgpr_spill_count: 0
    .symbol:         _Z20warp_exchange_kernelILj256ELj16ELj32EN6common18StripedToBlockedOpEoEvPT3_j.kd
    .uniform_work_group_size: 1
    .uses_dynamic_stack: false
    .vgpr_count:     68
    .vgpr_spill_count: 0
    .wavefront_size: 64
  - .agpr_count:     0
    .args:
      - .address_space:  global
        .offset:         0
        .size:           8
        .value_kind:     global_buffer
      - .offset:         8
        .size:           4
        .value_kind:     by_value
    .group_segment_fixed_size: 0
    .kernarg_segment_align: 8
    .kernarg_segment_size: 12
    .language:       OpenCL C
    .language_version:
      - 2
      - 0
    .max_flat_workgroup_size: 256
    .name:           _Z20warp_exchange_kernelILj256ELj1ELj16EN6common25BlockedToStripedShuffleOpEoEvPT3_j
    .private_segment_fixed_size: 0
    .sgpr_count:     10
    .sgpr_spill_count: 0
    .symbol:         _Z20warp_exchange_kernelILj256ELj1ELj16EN6common25BlockedToStripedShuffleOpEoEvPT3_j.kd
    .uniform_work_group_size: 1
    .uses_dynamic_stack: false
    .vgpr_count:     6
    .vgpr_spill_count: 0
    .wavefront_size: 64
  - .agpr_count:     0
    .args:
      - .address_space:  global
        .offset:         0
        .size:           8
        .value_kind:     global_buffer
      - .offset:         8
        .size:           4
        .value_kind:     by_value
    .group_segment_fixed_size: 0
    .kernarg_segment_align: 8
    .kernarg_segment_size: 12
    .language:       OpenCL C
    .language_version:
      - 2
      - 0
    .max_flat_workgroup_size: 256
    .name:           _Z20warp_exchange_kernelILj256ELj1ELj32EN6common25BlockedToStripedShuffleOpEoEvPT3_j
    .private_segment_fixed_size: 0
    .sgpr_count:     10
    .sgpr_spill_count: 0
    .symbol:         _Z20warp_exchange_kernelILj256ELj1ELj32EN6common25BlockedToStripedShuffleOpEoEvPT3_j.kd
    .uniform_work_group_size: 1
    .uses_dynamic_stack: false
    .vgpr_count:     6
    .vgpr_spill_count: 0
    .wavefront_size: 64
  - .agpr_count:     0
    .args:
      - .address_space:  global
        .offset:         0
        .size:           8
        .value_kind:     global_buffer
      - .offset:         8
        .size:           4
        .value_kind:     by_value
    .group_segment_fixed_size: 0
    .kernarg_segment_align: 8
    .kernarg_segment_size: 12
    .language:       OpenCL C
    .language_version:
      - 2
      - 0
    .max_flat_workgroup_size: 256
    .name:           _Z20warp_exchange_kernelILj256ELj4ELj16EN6common25BlockedToStripedShuffleOpEoEvPT3_j
    .private_segment_fixed_size: 0
    .sgpr_count:     58
    .sgpr_spill_count: 0
    .symbol:         _Z20warp_exchange_kernelILj256ELj4ELj16EN6common25BlockedToStripedShuffleOpEoEvPT3_j.kd
    .uniform_work_group_size: 1
    .uses_dynamic_stack: false
    .vgpr_count:     32
    .vgpr_spill_count: 0
    .wavefront_size: 64
  - .agpr_count:     0
    .args:
      - .address_space:  global
        .offset:         0
        .size:           8
        .value_kind:     global_buffer
      - .offset:         8
        .size:           4
        .value_kind:     by_value
    .group_segment_fixed_size: 0
    .kernarg_segment_align: 8
    .kernarg_segment_size: 12
    .language:       OpenCL C
    .language_version:
      - 2
      - 0
    .max_flat_workgroup_size: 256
    .name:           _Z20warp_exchange_kernelILj256ELj4ELj32EN6common25BlockedToStripedShuffleOpEoEvPT3_j
    .private_segment_fixed_size: 0
    .sgpr_count:     18
    .sgpr_spill_count: 0
    .symbol:         _Z20warp_exchange_kernelILj256ELj4ELj32EN6common25BlockedToStripedShuffleOpEoEvPT3_j.kd
    .uniform_work_group_size: 1
    .uses_dynamic_stack: false
    .vgpr_count:     37
    .vgpr_spill_count: 0
    .wavefront_size: 64
  - .agpr_count:     0
    .args:
      - .address_space:  global
        .offset:         0
        .size:           8
        .value_kind:     global_buffer
      - .offset:         8
        .size:           4
        .value_kind:     by_value
    .group_segment_fixed_size: 0
    .kernarg_segment_align: 8
    .kernarg_segment_size: 12
    .language:       OpenCL C
    .language_version:
      - 2
      - 0
    .max_flat_workgroup_size: 256
    .name:           _Z20warp_exchange_kernelILj256ELj16ELj16EN6common25BlockedToStripedShuffleOpEoEvPT3_j
    .private_segment_fixed_size: 272
    .sgpr_count:     12
    .sgpr_spill_count: 0
    .symbol:         _Z20warp_exchange_kernelILj256ELj16ELj16EN6common25BlockedToStripedShuffleOpEoEvPT3_j.kd
    .uniform_work_group_size: 1
    .uses_dynamic_stack: false
    .vgpr_count:     102
    .vgpr_spill_count: 0
    .wavefront_size: 64
  - .agpr_count:     0
    .args:
      - .address_space:  global
        .offset:         0
        .size:           8
        .value_kind:     global_buffer
      - .offset:         8
        .size:           4
        .value_kind:     by_value
    .group_segment_fixed_size: 0
    .kernarg_segment_align: 8
    .kernarg_segment_size: 12
    .language:       OpenCL C
    .language_version:
      - 2
      - 0
    .max_flat_workgroup_size: 256
    .name:           _Z20warp_exchange_kernelILj256ELj16ELj32EN6common25BlockedToStripedShuffleOpEoEvPT3_j
    .private_segment_fixed_size: 528
    .sgpr_count:     10
    .sgpr_spill_count: 0
    .symbol:         _Z20warp_exchange_kernelILj256ELj16ELj32EN6common25BlockedToStripedShuffleOpEoEvPT3_j.kd
    .uniform_work_group_size: 1
    .uses_dynamic_stack: false
    .vgpr_count:     106
    .vgpr_spill_count: 0
    .wavefront_size: 64
  - .agpr_count:     0
    .args:
      - .address_space:  global
        .offset:         0
        .size:           8
        .value_kind:     global_buffer
      - .offset:         8
        .size:           4
        .value_kind:     by_value
    .group_segment_fixed_size: 0
    .kernarg_segment_align: 8
    .kernarg_segment_size: 12
    .language:       OpenCL C
    .language_version:
      - 2
      - 0
    .max_flat_workgroup_size: 256
    .name:           _Z20warp_exchange_kernelILj256ELj1ELj16EN6common25StripedToBlockedShuffleOpEoEvPT3_j
    .private_segment_fixed_size: 0
    .sgpr_count:     10
    .sgpr_spill_count: 0
    .symbol:         _Z20warp_exchange_kernelILj256ELj1ELj16EN6common25StripedToBlockedShuffleOpEoEvPT3_j.kd
    .uniform_work_group_size: 1
    .uses_dynamic_stack: false
    .vgpr_count:     6
    .vgpr_spill_count: 0
    .wavefront_size: 64
  - .agpr_count:     0
    .args:
      - .address_space:  global
        .offset:         0
        .size:           8
        .value_kind:     global_buffer
      - .offset:         8
        .size:           4
        .value_kind:     by_value
    .group_segment_fixed_size: 0
    .kernarg_segment_align: 8
    .kernarg_segment_size: 12
    .language:       OpenCL C
    .language_version:
      - 2
      - 0
    .max_flat_workgroup_size: 256
    .name:           _Z20warp_exchange_kernelILj256ELj1ELj32EN6common25StripedToBlockedShuffleOpEoEvPT3_j
    .private_segment_fixed_size: 0
    .sgpr_count:     10
    .sgpr_spill_count: 0
    .symbol:         _Z20warp_exchange_kernelILj256ELj1ELj32EN6common25StripedToBlockedShuffleOpEoEvPT3_j.kd
    .uniform_work_group_size: 1
    .uses_dynamic_stack: false
    .vgpr_count:     6
    .vgpr_spill_count: 0
    .wavefront_size: 64
  - .agpr_count:     0
    .args:
      - .address_space:  global
        .offset:         0
        .size:           8
        .value_kind:     global_buffer
      - .offset:         8
        .size:           4
        .value_kind:     by_value
    .group_segment_fixed_size: 0
    .kernarg_segment_align: 8
    .kernarg_segment_size: 12
    .language:       OpenCL C
    .language_version:
      - 2
      - 0
    .max_flat_workgroup_size: 256
    .name:           _Z20warp_exchange_kernelILj256ELj4ELj16EN6common25StripedToBlockedShuffleOpEoEvPT3_j
    .private_segment_fixed_size: 144
    .sgpr_count:     10
    .sgpr_spill_count: 0
    .symbol:         _Z20warp_exchange_kernelILj256ELj4ELj16EN6common25StripedToBlockedShuffleOpEoEvPT3_j.kd
    .uniform_work_group_size: 1
    .uses_dynamic_stack: false
    .vgpr_count:     34
    .vgpr_spill_count: 0
    .wavefront_size: 64
  - .agpr_count:     0
    .args:
      - .address_space:  global
        .offset:         0
        .size:           8
        .value_kind:     global_buffer
      - .offset:         8
        .size:           4
        .value_kind:     by_value
    .group_segment_fixed_size: 0
    .kernarg_segment_align: 8
    .kernarg_segment_size: 12
    .language:       OpenCL C
    .language_version:
      - 2
      - 0
    .max_flat_workgroup_size: 256
    .name:           _Z20warp_exchange_kernelILj256ELj4ELj32EN6common25StripedToBlockedShuffleOpEoEvPT3_j
    .private_segment_fixed_size: 0
    .sgpr_count:     18
    .sgpr_spill_count: 0
    .symbol:         _Z20warp_exchange_kernelILj256ELj4ELj32EN6common25StripedToBlockedShuffleOpEoEvPT3_j.kd
    .uniform_work_group_size: 1
    .uses_dynamic_stack: false
    .vgpr_count:     37
    .vgpr_spill_count: 0
    .wavefront_size: 64
  - .agpr_count:     0
    .args:
      - .address_space:  global
        .offset:         0
        .size:           8
        .value_kind:     global_buffer
      - .offset:         8
        .size:           4
        .value_kind:     by_value
    .group_segment_fixed_size: 0
    .kernarg_segment_align: 8
    .kernarg_segment_size: 12
    .language:       OpenCL C
    .language_version:
      - 2
      - 0
    .max_flat_workgroup_size: 256
    .name:           _Z20warp_exchange_kernelILj256ELj16ELj16EN6common25StripedToBlockedShuffleOpEoEvPT3_j
    .private_segment_fixed_size: 272
    .sgpr_count:     12
    .sgpr_spill_count: 0
    .symbol:         _Z20warp_exchange_kernelILj256ELj16ELj16EN6common25StripedToBlockedShuffleOpEoEvPT3_j.kd
    .uniform_work_group_size: 1
    .uses_dynamic_stack: false
    .vgpr_count:     102
    .vgpr_spill_count: 0
    .wavefront_size: 64
  - .agpr_count:     0
    .args:
      - .address_space:  global
        .offset:         0
        .size:           8
        .value_kind:     global_buffer
      - .offset:         8
        .size:           4
        .value_kind:     by_value
    .group_segment_fixed_size: 0
    .kernarg_segment_align: 8
    .kernarg_segment_size: 12
    .language:       OpenCL C
    .language_version:
      - 2
      - 0
    .max_flat_workgroup_size: 256
    .name:           _Z20warp_exchange_kernelILj256ELj16ELj32EN6common25StripedToBlockedShuffleOpEoEvPT3_j
    .private_segment_fixed_size: 528
    .sgpr_count:     10
    .sgpr_spill_count: 0
    .symbol:         _Z20warp_exchange_kernelILj256ELj16ELj32EN6common25StripedToBlockedShuffleOpEoEvPT3_j.kd
    .uniform_work_group_size: 1
    .uses_dynamic_stack: false
    .vgpr_count:     114
    .vgpr_spill_count: 0
    .wavefront_size: 64
  - .agpr_count:     0
    .args:
      - .address_space:  global
        .offset:         0
        .size:           8
        .value_kind:     global_buffer
      - .offset:         8
        .size:           4
        .value_kind:     by_value
    .group_segment_fixed_size: 4096
    .kernarg_segment_align: 8
    .kernarg_segment_size: 12
    .language:       OpenCL C
    .language_version:
      - 2
      - 0
    .max_flat_workgroup_size: 256
    .name:           _Z20warp_exchange_kernelILj256ELj1ELj16E18ScatterToStripedOpoEvPT3_j
    .private_segment_fixed_size: 0
    .sgpr_count:     10
    .sgpr_spill_count: 0
    .symbol:         _Z20warp_exchange_kernelILj256ELj1ELj16E18ScatterToStripedOpoEvPT3_j.kd
    .uniform_work_group_size: 1
    .uses_dynamic_stack: false
    .vgpr_count:     8
    .vgpr_spill_count: 0
    .wavefront_size: 64
  - .agpr_count:     0
    .args:
      - .address_space:  global
        .offset:         0
        .size:           8
        .value_kind:     global_buffer
      - .offset:         8
        .size:           4
        .value_kind:     by_value
    .group_segment_fixed_size: 4096
    .kernarg_segment_align: 8
    .kernarg_segment_size: 12
    .language:       OpenCL C
    .language_version:
      - 2
      - 0
    .max_flat_workgroup_size: 256
    .name:           _Z20warp_exchange_kernelILj256ELj1ELj32E18ScatterToStripedOpoEvPT3_j
    .private_segment_fixed_size: 0
    .sgpr_count:     10
    .sgpr_spill_count: 0
    .symbol:         _Z20warp_exchange_kernelILj256ELj1ELj32E18ScatterToStripedOpoEvPT3_j.kd
    .uniform_work_group_size: 1
    .uses_dynamic_stack: false
    .vgpr_count:     8
    .vgpr_spill_count: 0
    .wavefront_size: 64
  - .agpr_count:     0
    .args:
      - .address_space:  global
        .offset:         0
        .size:           8
        .value_kind:     global_buffer
      - .offset:         8
        .size:           4
        .value_kind:     by_value
    .group_segment_fixed_size: 16384
    .kernarg_segment_align: 8
    .kernarg_segment_size: 12
    .language:       OpenCL C
    .language_version:
      - 2
      - 0
    .max_flat_workgroup_size: 256
    .name:           _Z20warp_exchange_kernelILj256ELj4ELj16E18ScatterToStripedOpoEvPT3_j
    .private_segment_fixed_size: 0
    .sgpr_count:     10
    .sgpr_spill_count: 0
    .symbol:         _Z20warp_exchange_kernelILj256ELj4ELj16E18ScatterToStripedOpoEvPT3_j.kd
    .uniform_work_group_size: 1
    .uses_dynamic_stack: false
    .vgpr_count:     21
    .vgpr_spill_count: 0
    .wavefront_size: 64
  - .agpr_count:     0
    .args:
      - .address_space:  global
        .offset:         0
        .size:           8
        .value_kind:     global_buffer
      - .offset:         8
        .size:           4
        .value_kind:     by_value
    .group_segment_fixed_size: 16384
    .kernarg_segment_align: 8
    .kernarg_segment_size: 12
    .language:       OpenCL C
    .language_version:
      - 2
      - 0
    .max_flat_workgroup_size: 256
    .name:           _Z20warp_exchange_kernelILj256ELj4ELj32E18ScatterToStripedOpoEvPT3_j
    .private_segment_fixed_size: 0
    .sgpr_count:     10
    .sgpr_spill_count: 0
    .symbol:         _Z20warp_exchange_kernelILj256ELj4ELj32E18ScatterToStripedOpoEvPT3_j.kd
    .uniform_work_group_size: 1
    .uses_dynamic_stack: false
    .vgpr_count:     21
    .vgpr_spill_count: 0
    .wavefront_size: 64
  - .agpr_count:     0
    .args:
      - .address_space:  global
        .offset:         0
        .size:           8
        .value_kind:     global_buffer
      - .offset:         8
        .size:           4
        .value_kind:     by_value
    .group_segment_fixed_size: 65536
    .kernarg_segment_align: 8
    .kernarg_segment_size: 12
    .language:       OpenCL C
    .language_version:
      - 2
      - 0
    .max_flat_workgroup_size: 256
    .name:           _Z20warp_exchange_kernelILj256ELj16ELj16E18ScatterToStripedOpoEvPT3_j
    .private_segment_fixed_size: 0
    .sgpr_count:     10
    .sgpr_spill_count: 0
    .symbol:         _Z20warp_exchange_kernelILj256ELj16ELj16E18ScatterToStripedOpoEvPT3_j.kd
    .uniform_work_group_size: 1
    .uses_dynamic_stack: false
    .vgpr_count:     69
    .vgpr_spill_count: 0
    .wavefront_size: 64
  - .agpr_count:     0
    .args:
      - .address_space:  global
        .offset:         0
        .size:           8
        .value_kind:     global_buffer
      - .offset:         8
        .size:           4
        .value_kind:     by_value
    .group_segment_fixed_size: 65536
    .kernarg_segment_align: 8
    .kernarg_segment_size: 12
    .language:       OpenCL C
    .language_version:
      - 2
      - 0
    .max_flat_workgroup_size: 256
    .name:           _Z20warp_exchange_kernelILj256ELj16ELj32E18ScatterToStripedOpoEvPT3_j
    .private_segment_fixed_size: 0
    .sgpr_count:     10
    .sgpr_spill_count: 0
    .symbol:         _Z20warp_exchange_kernelILj256ELj16ELj32E18ScatterToStripedOpoEvPT3_j.kd
    .uniform_work_group_size: 1
    .uses_dynamic_stack: false
    .vgpr_count:     69
    .vgpr_spill_count: 0
    .wavefront_size: 64
  - .agpr_count:     0
    .args:
      - .address_space:  global
        .offset:         0
        .size:           8
        .value_kind:     global_buffer
      - .offset:         8
        .size:           4
        .value_kind:     by_value
    .group_segment_fixed_size: 1024
    .kernarg_segment_align: 8
    .kernarg_segment_size: 12
    .language:       OpenCL C
    .language_version:
      - 2
      - 0
    .max_flat_workgroup_size: 256
    .name:           _Z20warp_exchange_kernelILj256ELj1ELj64EN6common18BlockedToStripedOpEiEvPT3_j
    .private_segment_fixed_size: 0
    .sgpr_count:     10
    .sgpr_spill_count: 0
    .symbol:         _Z20warp_exchange_kernelILj256ELj1ELj64EN6common18BlockedToStripedOpEiEvPT3_j.kd
    .uniform_work_group_size: 1
    .uses_dynamic_stack: false
    .vgpr_count:     4
    .vgpr_spill_count: 0
    .wavefront_size: 64
  - .agpr_count:     0
    .args:
      - .address_space:  global
        .offset:         0
        .size:           8
        .value_kind:     global_buffer
      - .offset:         8
        .size:           4
        .value_kind:     by_value
    .group_segment_fixed_size: 4096
    .kernarg_segment_align: 8
    .kernarg_segment_size: 12
    .language:       OpenCL C
    .language_version:
      - 2
      - 0
    .max_flat_workgroup_size: 256
    .name:           _Z20warp_exchange_kernelILj256ELj4ELj64EN6common18BlockedToStripedOpEiEvPT3_j
    .private_segment_fixed_size: 0
    .sgpr_count:     10
    .sgpr_spill_count: 0
    .symbol:         _Z20warp_exchange_kernelILj256ELj4ELj64EN6common18BlockedToStripedOpEiEvPT3_j.kd
    .uniform_work_group_size: 1
    .uses_dynamic_stack: false
    .vgpr_count:     8
    .vgpr_spill_count: 0
    .wavefront_size: 64
  - .agpr_count:     0
    .args:
      - .address_space:  global
        .offset:         0
        .size:           8
        .value_kind:     global_buffer
      - .offset:         8
        .size:           4
        .value_kind:     by_value
    .group_segment_fixed_size: 16384
    .kernarg_segment_align: 8
    .kernarg_segment_size: 12
    .language:       OpenCL C
    .language_version:
      - 2
      - 0
    .max_flat_workgroup_size: 256
    .name:           _Z20warp_exchange_kernelILj256ELj16ELj64EN6common18BlockedToStripedOpEiEvPT3_j
    .private_segment_fixed_size: 0
    .sgpr_count:     10
    .sgpr_spill_count: 0
    .symbol:         _Z20warp_exchange_kernelILj256ELj16ELj64EN6common18BlockedToStripedOpEiEvPT3_j.kd
    .uniform_work_group_size: 1
    .uses_dynamic_stack: false
    .vgpr_count:     34
    .vgpr_spill_count: 0
    .wavefront_size: 64
  - .agpr_count:     0
    .args:
      - .address_space:  global
        .offset:         0
        .size:           8
        .value_kind:     global_buffer
      - .offset:         8
        .size:           4
        .value_kind:     by_value
    .group_segment_fixed_size: 65536
    .kernarg_segment_align: 8
    .kernarg_segment_size: 12
    .language:       OpenCL C
    .language_version:
      - 2
      - 0
    .max_flat_workgroup_size: 256
    .name:           _Z20warp_exchange_kernelILj256ELj64ELj64EN6common18BlockedToStripedOpEiEvPT3_j
    .private_segment_fixed_size: 0
    .sgpr_count:     10
    .sgpr_spill_count: 0
    .symbol:         _Z20warp_exchange_kernelILj256ELj64ELj64EN6common18BlockedToStripedOpEiEvPT3_j.kd
    .uniform_work_group_size: 1
    .uses_dynamic_stack: false
    .vgpr_count:     130
    .vgpr_spill_count: 0
    .wavefront_size: 64
  - .agpr_count:     0
    .args:
      - .address_space:  global
        .offset:         0
        .size:           8
        .value_kind:     global_buffer
      - .offset:         8
        .size:           4
        .value_kind:     by_value
    .group_segment_fixed_size: 1024
    .kernarg_segment_align: 8
    .kernarg_segment_size: 12
    .language:       OpenCL C
    .language_version:
      - 2
      - 0
    .max_flat_workgroup_size: 256
    .name:           _Z20warp_exchange_kernelILj256ELj1ELj64EN6common18StripedToBlockedOpEiEvPT3_j
    .private_segment_fixed_size: 0
    .sgpr_count:     10
    .sgpr_spill_count: 0
    .symbol:         _Z20warp_exchange_kernelILj256ELj1ELj64EN6common18StripedToBlockedOpEiEvPT3_j.kd
    .uniform_work_group_size: 1
    .uses_dynamic_stack: false
    .vgpr_count:     4
    .vgpr_spill_count: 0
    .wavefront_size: 64
  - .agpr_count:     0
    .args:
      - .address_space:  global
        .offset:         0
        .size:           8
        .value_kind:     global_buffer
      - .offset:         8
        .size:           4
        .value_kind:     by_value
    .group_segment_fixed_size: 4096
    .kernarg_segment_align: 8
    .kernarg_segment_size: 12
    .language:       OpenCL C
    .language_version:
      - 2
      - 0
    .max_flat_workgroup_size: 256
    .name:           _Z20warp_exchange_kernelILj256ELj4ELj64EN6common18StripedToBlockedOpEiEvPT3_j
    .private_segment_fixed_size: 0
    .sgpr_count:     10
    .sgpr_spill_count: 0
    .symbol:         _Z20warp_exchange_kernelILj256ELj4ELj64EN6common18StripedToBlockedOpEiEvPT3_j.kd
    .uniform_work_group_size: 1
    .uses_dynamic_stack: false
    .vgpr_count:     8
    .vgpr_spill_count: 0
    .wavefront_size: 64
  - .agpr_count:     0
    .args:
      - .address_space:  global
        .offset:         0
        .size:           8
        .value_kind:     global_buffer
      - .offset:         8
        .size:           4
        .value_kind:     by_value
    .group_segment_fixed_size: 16384
    .kernarg_segment_align: 8
    .kernarg_segment_size: 12
    .language:       OpenCL C
    .language_version:
      - 2
      - 0
    .max_flat_workgroup_size: 256
    .name:           _Z20warp_exchange_kernelILj256ELj16ELj64EN6common18StripedToBlockedOpEiEvPT3_j
    .private_segment_fixed_size: 0
    .sgpr_count:     10
    .sgpr_spill_count: 0
    .symbol:         _Z20warp_exchange_kernelILj256ELj16ELj64EN6common18StripedToBlockedOpEiEvPT3_j.kd
    .uniform_work_group_size: 1
    .uses_dynamic_stack: false
    .vgpr_count:     20
    .vgpr_spill_count: 0
    .wavefront_size: 64
  - .agpr_count:     0
    .args:
      - .address_space:  global
        .offset:         0
        .size:           8
        .value_kind:     global_buffer
      - .offset:         8
        .size:           4
        .value_kind:     by_value
    .group_segment_fixed_size: 65536
    .kernarg_segment_align: 8
    .kernarg_segment_size: 12
    .language:       OpenCL C
    .language_version:
      - 2
      - 0
    .max_flat_workgroup_size: 256
    .name:           _Z20warp_exchange_kernelILj256ELj64ELj64EN6common18StripedToBlockedOpEiEvPT3_j
    .private_segment_fixed_size: 0
    .sgpr_count:     10
    .sgpr_spill_count: 0
    .symbol:         _Z20warp_exchange_kernelILj256ELj64ELj64EN6common18StripedToBlockedOpEiEvPT3_j.kd
    .uniform_work_group_size: 1
    .uses_dynamic_stack: false
    .vgpr_count:     68
    .vgpr_spill_count: 0
    .wavefront_size: 64
  - .agpr_count:     0
    .args:
      - .address_space:  global
        .offset:         0
        .size:           8
        .value_kind:     global_buffer
      - .offset:         8
        .size:           4
        .value_kind:     by_value
    .group_segment_fixed_size: 0
    .kernarg_segment_align: 8
    .kernarg_segment_size: 12
    .language:       OpenCL C
    .language_version:
      - 2
      - 0
    .max_flat_workgroup_size: 256
    .name:           _Z20warp_exchange_kernelILj256ELj1ELj64EN6common25BlockedToStripedShuffleOpEiEvPT3_j
    .private_segment_fixed_size: 0
    .sgpr_count:     10
    .sgpr_spill_count: 0
    .symbol:         _Z20warp_exchange_kernelILj256ELj1ELj64EN6common25BlockedToStripedShuffleOpEiEvPT3_j.kd
    .uniform_work_group_size: 1
    .uses_dynamic_stack: false
    .vgpr_count:     4
    .vgpr_spill_count: 0
    .wavefront_size: 64
  - .agpr_count:     0
    .args:
      - .address_space:  global
        .offset:         0
        .size:           8
        .value_kind:     global_buffer
      - .offset:         8
        .size:           4
        .value_kind:     by_value
    .group_segment_fixed_size: 0
    .kernarg_segment_align: 8
    .kernarg_segment_size: 12
    .language:       OpenCL C
    .language_version:
      - 2
      - 0
    .max_flat_workgroup_size: 256
    .name:           _Z20warp_exchange_kernelILj256ELj4ELj64EN6common25BlockedToStripedShuffleOpEiEvPT3_j
    .private_segment_fixed_size: 0
    .sgpr_count:     14
    .sgpr_spill_count: 0
    .symbol:         _Z20warp_exchange_kernelILj256ELj4ELj64EN6common25BlockedToStripedShuffleOpEiEvPT3_j.kd
    .uniform_work_group_size: 1
    .uses_dynamic_stack: false
    .vgpr_count:     17
    .vgpr_spill_count: 0
    .wavefront_size: 64
  - .agpr_count:     0
    .args:
      - .address_space:  global
        .offset:         0
        .size:           8
        .value_kind:     global_buffer
      - .offset:         8
        .size:           4
        .value_kind:     by_value
    .group_segment_fixed_size: 0
    .kernarg_segment_align: 8
    .kernarg_segment_size: 12
    .language:       OpenCL C
    .language_version:
      - 2
      - 0
    .max_flat_workgroup_size: 256
    .name:           _Z20warp_exchange_kernelILj256ELj16ELj64EN6common25BlockedToStripedShuffleOpEiEvPT3_j
    .private_segment_fixed_size: 0
    .sgpr_count:     86
    .sgpr_spill_count: 0
    .symbol:         _Z20warp_exchange_kernelILj256ELj16ELj64EN6common25BlockedToStripedShuffleOpEiEvPT3_j.kd
    .uniform_work_group_size: 1
    .uses_dynamic_stack: false
    .vgpr_count:     92
    .vgpr_spill_count: 0
    .wavefront_size: 64
  - .agpr_count:     2
    .args:
      - .address_space:  global
        .offset:         0
        .size:           8
        .value_kind:     global_buffer
      - .offset:         8
        .size:           4
        .value_kind:     by_value
    .group_segment_fixed_size: 0
    .kernarg_segment_align: 8
    .kernarg_segment_size: 12
    .language:       OpenCL C
    .language_version:
      - 2
      - 0
    .max_flat_workgroup_size: 256
    .name:           _Z20warp_exchange_kernelILj256ELj64ELj64EN6common25BlockedToStripedShuffleOpEiEvPT3_j
    .private_segment_fixed_size: 272
    .sgpr_count:     20
    .sgpr_spill_count: 0
    .symbol:         _Z20warp_exchange_kernelILj256ELj64ELj64EN6common25BlockedToStripedShuffleOpEiEvPT3_j.kd
    .uniform_work_group_size: 1
    .uses_dynamic_stack: false
    .vgpr_count:     258
    .vgpr_spill_count: 0
    .wavefront_size: 64
  - .agpr_count:     0
    .args:
      - .address_space:  global
        .offset:         0
        .size:           8
        .value_kind:     global_buffer
      - .offset:         8
        .size:           4
        .value_kind:     by_value
    .group_segment_fixed_size: 0
    .kernarg_segment_align: 8
    .kernarg_segment_size: 12
    .language:       OpenCL C
    .language_version:
      - 2
      - 0
    .max_flat_workgroup_size: 256
    .name:           _Z20warp_exchange_kernelILj256ELj1ELj64EN6common25StripedToBlockedShuffleOpEiEvPT3_j
    .private_segment_fixed_size: 0
    .sgpr_count:     10
    .sgpr_spill_count: 0
    .symbol:         _Z20warp_exchange_kernelILj256ELj1ELj64EN6common25StripedToBlockedShuffleOpEiEvPT3_j.kd
    .uniform_work_group_size: 1
    .uses_dynamic_stack: false
    .vgpr_count:     4
    .vgpr_spill_count: 0
    .wavefront_size: 64
  - .agpr_count:     0
    .args:
      - .address_space:  global
        .offset:         0
        .size:           8
        .value_kind:     global_buffer
      - .offset:         8
        .size:           4
        .value_kind:     by_value
    .group_segment_fixed_size: 0
    .kernarg_segment_align: 8
    .kernarg_segment_size: 12
    .language:       OpenCL C
    .language_version:
      - 2
      - 0
    .max_flat_workgroup_size: 256
    .name:           _Z20warp_exchange_kernelILj256ELj4ELj64EN6common25StripedToBlockedShuffleOpEiEvPT3_j
    .private_segment_fixed_size: 0
    .sgpr_count:     14
    .sgpr_spill_count: 0
    .symbol:         _Z20warp_exchange_kernelILj256ELj4ELj64EN6common25StripedToBlockedShuffleOpEiEvPT3_j.kd
    .uniform_work_group_size: 1
    .uses_dynamic_stack: false
    .vgpr_count:     17
    .vgpr_spill_count: 0
    .wavefront_size: 64
  - .agpr_count:     0
    .args:
      - .address_space:  global
        .offset:         0
        .size:           8
        .value_kind:     global_buffer
      - .offset:         8
        .size:           4
        .value_kind:     by_value
    .group_segment_fixed_size: 0
    .kernarg_segment_align: 8
    .kernarg_segment_size: 12
    .language:       OpenCL C
    .language_version:
      - 2
      - 0
    .max_flat_workgroup_size: 256
    .name:           _Z20warp_exchange_kernelILj256ELj16ELj64EN6common25StripedToBlockedShuffleOpEiEvPT3_j
    .private_segment_fixed_size: 0
    .sgpr_count:     86
    .sgpr_spill_count: 0
    .symbol:         _Z20warp_exchange_kernelILj256ELj16ELj64EN6common25StripedToBlockedShuffleOpEiEvPT3_j.kd
    .uniform_work_group_size: 1
    .uses_dynamic_stack: false
    .vgpr_count:     109
    .vgpr_spill_count: 0
    .wavefront_size: 64
  - .agpr_count:     2
    .args:
      - .address_space:  global
        .offset:         0
        .size:           8
        .value_kind:     global_buffer
      - .offset:         8
        .size:           4
        .value_kind:     by_value
    .group_segment_fixed_size: 0
    .kernarg_segment_align: 8
    .kernarg_segment_size: 12
    .language:       OpenCL C
    .language_version:
      - 2
      - 0
    .max_flat_workgroup_size: 256
    .name:           _Z20warp_exchange_kernelILj256ELj64ELj64EN6common25StripedToBlockedShuffleOpEiEvPT3_j
    .private_segment_fixed_size: 272
    .sgpr_count:     20
    .sgpr_spill_count: 0
    .symbol:         _Z20warp_exchange_kernelILj256ELj64ELj64EN6common25StripedToBlockedShuffleOpEiEvPT3_j.kd
    .uniform_work_group_size: 1
    .uses_dynamic_stack: false
    .vgpr_count:     258
    .vgpr_spill_count: 0
    .wavefront_size: 64
  - .agpr_count:     0
    .args:
      - .address_space:  global
        .offset:         0
        .size:           8
        .value_kind:     global_buffer
      - .offset:         8
        .size:           4
        .value_kind:     by_value
    .group_segment_fixed_size: 1024
    .kernarg_segment_align: 8
    .kernarg_segment_size: 12
    .language:       OpenCL C
    .language_version:
      - 2
      - 0
    .max_flat_workgroup_size: 256
    .name:           _Z20warp_exchange_kernelILj256ELj1ELj64E18ScatterToStripedOpiEvPT3_j
    .private_segment_fixed_size: 0
    .sgpr_count:     10
    .sgpr_spill_count: 0
    .symbol:         _Z20warp_exchange_kernelILj256ELj1ELj64E18ScatterToStripedOpiEvPT3_j.kd
    .uniform_work_group_size: 1
    .uses_dynamic_stack: false
    .vgpr_count:     5
    .vgpr_spill_count: 0
    .wavefront_size: 64
  - .agpr_count:     0
    .args:
      - .address_space:  global
        .offset:         0
        .size:           8
        .value_kind:     global_buffer
      - .offset:         8
        .size:           4
        .value_kind:     by_value
    .group_segment_fixed_size: 4096
    .kernarg_segment_align: 8
    .kernarg_segment_size: 12
    .language:       OpenCL C
    .language_version:
      - 2
      - 0
    .max_flat_workgroup_size: 256
    .name:           _Z20warp_exchange_kernelILj256ELj4ELj64E18ScatterToStripedOpiEvPT3_j
    .private_segment_fixed_size: 0
    .sgpr_count:     10
    .sgpr_spill_count: 0
    .symbol:         _Z20warp_exchange_kernelILj256ELj4ELj64E18ScatterToStripedOpiEvPT3_j.kd
    .uniform_work_group_size: 1
    .uses_dynamic_stack: false
    .vgpr_count:     10
    .vgpr_spill_count: 0
    .wavefront_size: 64
  - .agpr_count:     0
    .args:
      - .address_space:  global
        .offset:         0
        .size:           8
        .value_kind:     global_buffer
      - .offset:         8
        .size:           4
        .value_kind:     by_value
    .group_segment_fixed_size: 16384
    .kernarg_segment_align: 8
    .kernarg_segment_size: 12
    .language:       OpenCL C
    .language_version:
      - 2
      - 0
    .max_flat_workgroup_size: 256
    .name:           _Z20warp_exchange_kernelILj256ELj16ELj64E18ScatterToStripedOpiEvPT3_j
    .private_segment_fixed_size: 0
    .sgpr_count:     10
    .sgpr_spill_count: 0
    .symbol:         _Z20warp_exchange_kernelILj256ELj16ELj64E18ScatterToStripedOpiEvPT3_j.kd
    .uniform_work_group_size: 1
    .uses_dynamic_stack: false
    .vgpr_count:     35
    .vgpr_spill_count: 0
    .wavefront_size: 64
  - .agpr_count:     0
    .args:
      - .address_space:  global
        .offset:         0
        .size:           8
        .value_kind:     global_buffer
      - .offset:         8
        .size:           4
        .value_kind:     by_value
    .group_segment_fixed_size: 4096
    .kernarg_segment_align: 8
    .kernarg_segment_size: 12
    .language:       OpenCL C
    .language_version:
      - 2
      - 0
    .max_flat_workgroup_size: 256
    .name:           _Z20warp_exchange_kernelILj256ELj1ELj64EN6common18BlockedToStripedOpEnEvPT3_j
    .private_segment_fixed_size: 0
    .sgpr_count:     10
    .sgpr_spill_count: 0
    .symbol:         _Z20warp_exchange_kernelILj256ELj1ELj64EN6common18BlockedToStripedOpEnEvPT3_j.kd
    .uniform_work_group_size: 1
    .uses_dynamic_stack: false
    .vgpr_count:     7
    .vgpr_spill_count: 0
    .wavefront_size: 64
  - .agpr_count:     0
    .args:
      - .address_space:  global
        .offset:         0
        .size:           8
        .value_kind:     global_buffer
      - .offset:         8
        .size:           4
        .value_kind:     by_value
    .group_segment_fixed_size: 16384
    .kernarg_segment_align: 8
    .kernarg_segment_size: 12
    .language:       OpenCL C
    .language_version:
      - 2
      - 0
    .max_flat_workgroup_size: 256
    .name:           _Z20warp_exchange_kernelILj256ELj4ELj64EN6common18BlockedToStripedOpEnEvPT3_j
    .private_segment_fixed_size: 0
    .sgpr_count:     10
    .sgpr_spill_count: 0
    .symbol:         _Z20warp_exchange_kernelILj256ELj4ELj64EN6common18BlockedToStripedOpEnEvPT3_j.kd
    .uniform_work_group_size: 1
    .uses_dynamic_stack: false
    .vgpr_count:     20
    .vgpr_spill_count: 0
    .wavefront_size: 64
  - .agpr_count:     0
    .args:
      - .address_space:  global
        .offset:         0
        .size:           8
        .value_kind:     global_buffer
      - .offset:         8
        .size:           4
        .value_kind:     by_value
    .group_segment_fixed_size: 65536
    .kernarg_segment_align: 8
    .kernarg_segment_size: 12
    .language:       OpenCL C
    .language_version:
      - 2
      - 0
    .max_flat_workgroup_size: 256
    .name:           _Z20warp_exchange_kernelILj256ELj16ELj64EN6common18BlockedToStripedOpEnEvPT3_j
    .private_segment_fixed_size: 0
    .sgpr_count:     10
    .sgpr_spill_count: 0
    .symbol:         _Z20warp_exchange_kernelILj256ELj16ELj64EN6common18BlockedToStripedOpEnEvPT3_j.kd
    .uniform_work_group_size: 1
    .uses_dynamic_stack: false
    .vgpr_count:     68
    .vgpr_spill_count: 0
    .wavefront_size: 64
  - .agpr_count:     0
    .args:
      - .address_space:  global
        .offset:         0
        .size:           8
        .value_kind:     global_buffer
      - .offset:         8
        .size:           4
        .value_kind:     by_value
    .group_segment_fixed_size: 4096
    .kernarg_segment_align: 8
    .kernarg_segment_size: 12
    .language:       OpenCL C
    .language_version:
      - 2
      - 0
    .max_flat_workgroup_size: 256
    .name:           _Z20warp_exchange_kernelILj256ELj1ELj64EN6common18StripedToBlockedOpEnEvPT3_j
    .private_segment_fixed_size: 0
    .sgpr_count:     10
    .sgpr_spill_count: 0
    .symbol:         _Z20warp_exchange_kernelILj256ELj1ELj64EN6common18StripedToBlockedOpEnEvPT3_j.kd
    .uniform_work_group_size: 1
    .uses_dynamic_stack: false
    .vgpr_count:     7
    .vgpr_spill_count: 0
    .wavefront_size: 64
  - .agpr_count:     0
    .args:
      - .address_space:  global
        .offset:         0
        .size:           8
        .value_kind:     global_buffer
      - .offset:         8
        .size:           4
        .value_kind:     by_value
    .group_segment_fixed_size: 16384
    .kernarg_segment_align: 8
    .kernarg_segment_size: 12
    .language:       OpenCL C
    .language_version:
      - 2
      - 0
    .max_flat_workgroup_size: 256
    .name:           _Z20warp_exchange_kernelILj256ELj4ELj64EN6common18StripedToBlockedOpEnEvPT3_j
    .private_segment_fixed_size: 0
    .sgpr_count:     10
    .sgpr_spill_count: 0
    .symbol:         _Z20warp_exchange_kernelILj256ELj4ELj64EN6common18StripedToBlockedOpEnEvPT3_j.kd
    .uniform_work_group_size: 1
    .uses_dynamic_stack: false
    .vgpr_count:     20
    .vgpr_spill_count: 0
    .wavefront_size: 64
  - .agpr_count:     0
    .args:
      - .address_space:  global
        .offset:         0
        .size:           8
        .value_kind:     global_buffer
      - .offset:         8
        .size:           4
        .value_kind:     by_value
    .group_segment_fixed_size: 65536
    .kernarg_segment_align: 8
    .kernarg_segment_size: 12
    .language:       OpenCL C
    .language_version:
      - 2
      - 0
    .max_flat_workgroup_size: 256
    .name:           _Z20warp_exchange_kernelILj256ELj16ELj64EN6common18StripedToBlockedOpEnEvPT3_j
    .private_segment_fixed_size: 0
    .sgpr_count:     10
    .sgpr_spill_count: 0
    .symbol:         _Z20warp_exchange_kernelILj256ELj16ELj64EN6common18StripedToBlockedOpEnEvPT3_j.kd
    .uniform_work_group_size: 1
    .uses_dynamic_stack: false
    .vgpr_count:     68
    .vgpr_spill_count: 0
    .wavefront_size: 64
  - .agpr_count:     0
    .args:
      - .address_space:  global
        .offset:         0
        .size:           8
        .value_kind:     global_buffer
      - .offset:         8
        .size:           4
        .value_kind:     by_value
    .group_segment_fixed_size: 0
    .kernarg_segment_align: 8
    .kernarg_segment_size: 12
    .language:       OpenCL C
    .language_version:
      - 2
      - 0
    .max_flat_workgroup_size: 256
    .name:           _Z20warp_exchange_kernelILj256ELj1ELj64EN6common25BlockedToStripedShuffleOpEnEvPT3_j
    .private_segment_fixed_size: 0
    .sgpr_count:     10
    .sgpr_spill_count: 0
    .symbol:         _Z20warp_exchange_kernelILj256ELj1ELj64EN6common25BlockedToStripedShuffleOpEnEvPT3_j.kd
    .uniform_work_group_size: 1
    .uses_dynamic_stack: false
    .vgpr_count:     6
    .vgpr_spill_count: 0
    .wavefront_size: 64
  - .agpr_count:     0
    .args:
      - .address_space:  global
        .offset:         0
        .size:           8
        .value_kind:     global_buffer
      - .offset:         8
        .size:           4
        .value_kind:     by_value
    .group_segment_fixed_size: 0
    .kernarg_segment_align: 8
    .kernarg_segment_size: 12
    .language:       OpenCL C
    .language_version:
      - 2
      - 0
    .max_flat_workgroup_size: 256
    .name:           _Z20warp_exchange_kernelILj256ELj4ELj64EN6common25BlockedToStripedShuffleOpEnEvPT3_j
    .private_segment_fixed_size: 0
    .sgpr_count:     18
    .sgpr_spill_count: 0
    .symbol:         _Z20warp_exchange_kernelILj256ELj4ELj64EN6common25BlockedToStripedShuffleOpEnEvPT3_j.kd
    .uniform_work_group_size: 1
    .uses_dynamic_stack: false
    .vgpr_count:     37
    .vgpr_spill_count: 0
    .wavefront_size: 64
  - .agpr_count:     0
    .args:
      - .address_space:  global
        .offset:         0
        .size:           8
        .value_kind:     global_buffer
      - .offset:         8
        .size:           4
        .value_kind:     by_value
    .group_segment_fixed_size: 0
    .kernarg_segment_align: 8
    .kernarg_segment_size: 12
    .language:       OpenCL C
    .language_version:
      - 2
      - 0
    .max_flat_workgroup_size: 256
    .name:           _Z20warp_exchange_kernelILj256ELj16ELj64EN6common25BlockedToStripedShuffleOpEnEvPT3_j
    .private_segment_fixed_size: 528
    .sgpr_count:     10
    .sgpr_spill_count: 0
    .symbol:         _Z20warp_exchange_kernelILj256ELj16ELj64EN6common25BlockedToStripedShuffleOpEnEvPT3_j.kd
    .uniform_work_group_size: 1
    .uses_dynamic_stack: false
    .vgpr_count:     128
    .vgpr_spill_count: 0
    .wavefront_size: 64
  - .agpr_count:     0
    .args:
      - .address_space:  global
        .offset:         0
        .size:           8
        .value_kind:     global_buffer
      - .offset:         8
        .size:           4
        .value_kind:     by_value
    .group_segment_fixed_size: 0
    .kernarg_segment_align: 8
    .kernarg_segment_size: 12
    .language:       OpenCL C
    .language_version:
      - 2
      - 0
    .max_flat_workgroup_size: 256
    .name:           _Z20warp_exchange_kernelILj256ELj1ELj64EN6common25StripedToBlockedShuffleOpEnEvPT3_j
    .private_segment_fixed_size: 0
    .sgpr_count:     10
    .sgpr_spill_count: 0
    .symbol:         _Z20warp_exchange_kernelILj256ELj1ELj64EN6common25StripedToBlockedShuffleOpEnEvPT3_j.kd
    .uniform_work_group_size: 1
    .uses_dynamic_stack: false
    .vgpr_count:     6
    .vgpr_spill_count: 0
    .wavefront_size: 64
  - .agpr_count:     0
    .args:
      - .address_space:  global
        .offset:         0
        .size:           8
        .value_kind:     global_buffer
      - .offset:         8
        .size:           4
        .value_kind:     by_value
    .group_segment_fixed_size: 0
    .kernarg_segment_align: 8
    .kernarg_segment_size: 12
    .language:       OpenCL C
    .language_version:
      - 2
      - 0
    .max_flat_workgroup_size: 256
    .name:           _Z20warp_exchange_kernelILj256ELj4ELj64EN6common25StripedToBlockedShuffleOpEnEvPT3_j
    .private_segment_fixed_size: 0
    .sgpr_count:     18
    .sgpr_spill_count: 0
    .symbol:         _Z20warp_exchange_kernelILj256ELj4ELj64EN6common25StripedToBlockedShuffleOpEnEvPT3_j.kd
    .uniform_work_group_size: 1
    .uses_dynamic_stack: false
    .vgpr_count:     37
    .vgpr_spill_count: 0
    .wavefront_size: 64
  - .agpr_count:     0
    .args:
      - .address_space:  global
        .offset:         0
        .size:           8
        .value_kind:     global_buffer
      - .offset:         8
        .size:           4
        .value_kind:     by_value
    .group_segment_fixed_size: 0
    .kernarg_segment_align: 8
    .kernarg_segment_size: 12
    .language:       OpenCL C
    .language_version:
      - 2
      - 0
    .max_flat_workgroup_size: 256
    .name:           _Z20warp_exchange_kernelILj256ELj16ELj64EN6common25StripedToBlockedShuffleOpEnEvPT3_j
    .private_segment_fixed_size: 528
    .sgpr_count:     10
    .sgpr_spill_count: 0
    .symbol:         _Z20warp_exchange_kernelILj256ELj16ELj64EN6common25StripedToBlockedShuffleOpEnEvPT3_j.kd
    .uniform_work_group_size: 1
    .uses_dynamic_stack: false
    .vgpr_count:     152
    .vgpr_spill_count: 0
    .wavefront_size: 64
  - .agpr_count:     0
    .args:
      - .address_space:  global
        .offset:         0
        .size:           8
        .value_kind:     global_buffer
      - .offset:         8
        .size:           4
        .value_kind:     by_value
    .group_segment_fixed_size: 4096
    .kernarg_segment_align: 8
    .kernarg_segment_size: 12
    .language:       OpenCL C
    .language_version:
      - 2
      - 0
    .max_flat_workgroup_size: 256
    .name:           _Z20warp_exchange_kernelILj256ELj1ELj64E18ScatterToStripedOpnEvPT3_j
    .private_segment_fixed_size: 0
    .sgpr_count:     10
    .sgpr_spill_count: 0
    .symbol:         _Z20warp_exchange_kernelILj256ELj1ELj64E18ScatterToStripedOpnEvPT3_j.kd
    .uniform_work_group_size: 1
    .uses_dynamic_stack: false
    .vgpr_count:     8
    .vgpr_spill_count: 0
    .wavefront_size: 64
  - .agpr_count:     0
    .args:
      - .address_space:  global
        .offset:         0
        .size:           8
        .value_kind:     global_buffer
      - .offset:         8
        .size:           4
        .value_kind:     by_value
    .group_segment_fixed_size: 16384
    .kernarg_segment_align: 8
    .kernarg_segment_size: 12
    .language:       OpenCL C
    .language_version:
      - 2
      - 0
    .max_flat_workgroup_size: 256
    .name:           _Z20warp_exchange_kernelILj256ELj4ELj64E18ScatterToStripedOpnEvPT3_j
    .private_segment_fixed_size: 0
    .sgpr_count:     10
    .sgpr_spill_count: 0
    .symbol:         _Z20warp_exchange_kernelILj256ELj4ELj64E18ScatterToStripedOpnEvPT3_j.kd
    .uniform_work_group_size: 1
    .uses_dynamic_stack: false
    .vgpr_count:     21
    .vgpr_spill_count: 0
    .wavefront_size: 64
  - .agpr_count:     0
    .args:
      - .address_space:  global
        .offset:         0
        .size:           8
        .value_kind:     global_buffer
      - .offset:         8
        .size:           4
        .value_kind:     by_value
    .group_segment_fixed_size: 65536
    .kernarg_segment_align: 8
    .kernarg_segment_size: 12
    .language:       OpenCL C
    .language_version:
      - 2
      - 0
    .max_flat_workgroup_size: 256
    .name:           _Z20warp_exchange_kernelILj256ELj16ELj64E18ScatterToStripedOpnEvPT3_j
    .private_segment_fixed_size: 0
    .sgpr_count:     10
    .sgpr_spill_count: 0
    .symbol:         _Z20warp_exchange_kernelILj256ELj16ELj64E18ScatterToStripedOpnEvPT3_j.kd
    .uniform_work_group_size: 1
    .uses_dynamic_stack: false
    .vgpr_count:     69
    .vgpr_spill_count: 0
    .wavefront_size: 64
  - .agpr_count:     0
    .args:
      - .address_space:  global
        .offset:         0
        .size:           8
        .value_kind:     global_buffer
      - .offset:         8
        .size:           4
        .value_kind:     by_value
    .group_segment_fixed_size: 4096
    .kernarg_segment_align: 8
    .kernarg_segment_size: 12
    .language:       OpenCL C
    .language_version:
      - 2
      - 0
    .max_flat_workgroup_size: 256
    .name:           _Z20warp_exchange_kernelILj256ELj1ELj64EN6common18BlockedToStripedOpEoEvPT3_j
    .private_segment_fixed_size: 0
    .sgpr_count:     10
    .sgpr_spill_count: 0
    .symbol:         _Z20warp_exchange_kernelILj256ELj1ELj64EN6common18BlockedToStripedOpEoEvPT3_j.kd
    .uniform_work_group_size: 1
    .uses_dynamic_stack: false
    .vgpr_count:     7
    .vgpr_spill_count: 0
    .wavefront_size: 64
  - .agpr_count:     0
    .args:
      - .address_space:  global
        .offset:         0
        .size:           8
        .value_kind:     global_buffer
      - .offset:         8
        .size:           4
        .value_kind:     by_value
    .group_segment_fixed_size: 16384
    .kernarg_segment_align: 8
    .kernarg_segment_size: 12
    .language:       OpenCL C
    .language_version:
      - 2
      - 0
    .max_flat_workgroup_size: 256
    .name:           _Z20warp_exchange_kernelILj256ELj4ELj64EN6common18BlockedToStripedOpEoEvPT3_j
    .private_segment_fixed_size: 0
    .sgpr_count:     10
    .sgpr_spill_count: 0
    .symbol:         _Z20warp_exchange_kernelILj256ELj4ELj64EN6common18BlockedToStripedOpEoEvPT3_j.kd
    .uniform_work_group_size: 1
    .uses_dynamic_stack: false
    .vgpr_count:     20
    .vgpr_spill_count: 0
    .wavefront_size: 64
  - .agpr_count:     0
    .args:
      - .address_space:  global
        .offset:         0
        .size:           8
        .value_kind:     global_buffer
      - .offset:         8
        .size:           4
        .value_kind:     by_value
    .group_segment_fixed_size: 65536
    .kernarg_segment_align: 8
    .kernarg_segment_size: 12
    .language:       OpenCL C
    .language_version:
      - 2
      - 0
    .max_flat_workgroup_size: 256
    .name:           _Z20warp_exchange_kernelILj256ELj16ELj64EN6common18BlockedToStripedOpEoEvPT3_j
    .private_segment_fixed_size: 0
    .sgpr_count:     10
    .sgpr_spill_count: 0
    .symbol:         _Z20warp_exchange_kernelILj256ELj16ELj64EN6common18BlockedToStripedOpEoEvPT3_j.kd
    .uniform_work_group_size: 1
    .uses_dynamic_stack: false
    .vgpr_count:     68
    .vgpr_spill_count: 0
    .wavefront_size: 64
  - .agpr_count:     0
    .args:
      - .address_space:  global
        .offset:         0
        .size:           8
        .value_kind:     global_buffer
      - .offset:         8
        .size:           4
        .value_kind:     by_value
    .group_segment_fixed_size: 4096
    .kernarg_segment_align: 8
    .kernarg_segment_size: 12
    .language:       OpenCL C
    .language_version:
      - 2
      - 0
    .max_flat_workgroup_size: 256
    .name:           _Z20warp_exchange_kernelILj256ELj1ELj64EN6common18StripedToBlockedOpEoEvPT3_j
    .private_segment_fixed_size: 0
    .sgpr_count:     10
    .sgpr_spill_count: 0
    .symbol:         _Z20warp_exchange_kernelILj256ELj1ELj64EN6common18StripedToBlockedOpEoEvPT3_j.kd
    .uniform_work_group_size: 1
    .uses_dynamic_stack: false
    .vgpr_count:     7
    .vgpr_spill_count: 0
    .wavefront_size: 64
  - .agpr_count:     0
    .args:
      - .address_space:  global
        .offset:         0
        .size:           8
        .value_kind:     global_buffer
      - .offset:         8
        .size:           4
        .value_kind:     by_value
    .group_segment_fixed_size: 16384
    .kernarg_segment_align: 8
    .kernarg_segment_size: 12
    .language:       OpenCL C
    .language_version:
      - 2
      - 0
    .max_flat_workgroup_size: 256
    .name:           _Z20warp_exchange_kernelILj256ELj4ELj64EN6common18StripedToBlockedOpEoEvPT3_j
    .private_segment_fixed_size: 0
    .sgpr_count:     10
    .sgpr_spill_count: 0
    .symbol:         _Z20warp_exchange_kernelILj256ELj4ELj64EN6common18StripedToBlockedOpEoEvPT3_j.kd
    .uniform_work_group_size: 1
    .uses_dynamic_stack: false
    .vgpr_count:     20
    .vgpr_spill_count: 0
    .wavefront_size: 64
  - .agpr_count:     0
    .args:
      - .address_space:  global
        .offset:         0
        .size:           8
        .value_kind:     global_buffer
      - .offset:         8
        .size:           4
        .value_kind:     by_value
    .group_segment_fixed_size: 65536
    .kernarg_segment_align: 8
    .kernarg_segment_size: 12
    .language:       OpenCL C
    .language_version:
      - 2
      - 0
    .max_flat_workgroup_size: 256
    .name:           _Z20warp_exchange_kernelILj256ELj16ELj64EN6common18StripedToBlockedOpEoEvPT3_j
    .private_segment_fixed_size: 0
    .sgpr_count:     10
    .sgpr_spill_count: 0
    .symbol:         _Z20warp_exchange_kernelILj256ELj16ELj64EN6common18StripedToBlockedOpEoEvPT3_j.kd
    .uniform_work_group_size: 1
    .uses_dynamic_stack: false
    .vgpr_count:     68
    .vgpr_spill_count: 0
    .wavefront_size: 64
  - .agpr_count:     0
    .args:
      - .address_space:  global
        .offset:         0
        .size:           8
        .value_kind:     global_buffer
      - .offset:         8
        .size:           4
        .value_kind:     by_value
    .group_segment_fixed_size: 0
    .kernarg_segment_align: 8
    .kernarg_segment_size: 12
    .language:       OpenCL C
    .language_version:
      - 2
      - 0
    .max_flat_workgroup_size: 256
    .name:           _Z20warp_exchange_kernelILj256ELj1ELj64EN6common25BlockedToStripedShuffleOpEoEvPT3_j
    .private_segment_fixed_size: 0
    .sgpr_count:     10
    .sgpr_spill_count: 0
    .symbol:         _Z20warp_exchange_kernelILj256ELj1ELj64EN6common25BlockedToStripedShuffleOpEoEvPT3_j.kd
    .uniform_work_group_size: 1
    .uses_dynamic_stack: false
    .vgpr_count:     6
    .vgpr_spill_count: 0
    .wavefront_size: 64
  - .agpr_count:     0
    .args:
      - .address_space:  global
        .offset:         0
        .size:           8
        .value_kind:     global_buffer
      - .offset:         8
        .size:           4
        .value_kind:     by_value
    .group_segment_fixed_size: 0
    .kernarg_segment_align: 8
    .kernarg_segment_size: 12
    .language:       OpenCL C
    .language_version:
      - 2
      - 0
    .max_flat_workgroup_size: 256
    .name:           _Z20warp_exchange_kernelILj256ELj4ELj64EN6common25BlockedToStripedShuffleOpEoEvPT3_j
    .private_segment_fixed_size: 0
    .sgpr_count:     18
    .sgpr_spill_count: 0
    .symbol:         _Z20warp_exchange_kernelILj256ELj4ELj64EN6common25BlockedToStripedShuffleOpEoEvPT3_j.kd
    .uniform_work_group_size: 1
    .uses_dynamic_stack: false
    .vgpr_count:     37
    .vgpr_spill_count: 0
    .wavefront_size: 64
  - .agpr_count:     0
    .args:
      - .address_space:  global
        .offset:         0
        .size:           8
        .value_kind:     global_buffer
      - .offset:         8
        .size:           4
        .value_kind:     by_value
    .group_segment_fixed_size: 0
    .kernarg_segment_align: 8
    .kernarg_segment_size: 12
    .language:       OpenCL C
    .language_version:
      - 2
      - 0
    .max_flat_workgroup_size: 256
    .name:           _Z20warp_exchange_kernelILj256ELj16ELj64EN6common25BlockedToStripedShuffleOpEoEvPT3_j
    .private_segment_fixed_size: 528
    .sgpr_count:     10
    .sgpr_spill_count: 0
    .symbol:         _Z20warp_exchange_kernelILj256ELj16ELj64EN6common25BlockedToStripedShuffleOpEoEvPT3_j.kd
    .uniform_work_group_size: 1
    .uses_dynamic_stack: false
    .vgpr_count:     128
    .vgpr_spill_count: 0
    .wavefront_size: 64
  - .agpr_count:     0
    .args:
      - .address_space:  global
        .offset:         0
        .size:           8
        .value_kind:     global_buffer
      - .offset:         8
        .size:           4
        .value_kind:     by_value
    .group_segment_fixed_size: 0
    .kernarg_segment_align: 8
    .kernarg_segment_size: 12
    .language:       OpenCL C
    .language_version:
      - 2
      - 0
    .max_flat_workgroup_size: 256
    .name:           _Z20warp_exchange_kernelILj256ELj1ELj64EN6common25StripedToBlockedShuffleOpEoEvPT3_j
    .private_segment_fixed_size: 0
    .sgpr_count:     10
    .sgpr_spill_count: 0
    .symbol:         _Z20warp_exchange_kernelILj256ELj1ELj64EN6common25StripedToBlockedShuffleOpEoEvPT3_j.kd
    .uniform_work_group_size: 1
    .uses_dynamic_stack: false
    .vgpr_count:     6
    .vgpr_spill_count: 0
    .wavefront_size: 64
  - .agpr_count:     0
    .args:
      - .address_space:  global
        .offset:         0
        .size:           8
        .value_kind:     global_buffer
      - .offset:         8
        .size:           4
        .value_kind:     by_value
    .group_segment_fixed_size: 0
    .kernarg_segment_align: 8
    .kernarg_segment_size: 12
    .language:       OpenCL C
    .language_version:
      - 2
      - 0
    .max_flat_workgroup_size: 256
    .name:           _Z20warp_exchange_kernelILj256ELj4ELj64EN6common25StripedToBlockedShuffleOpEoEvPT3_j
    .private_segment_fixed_size: 0
    .sgpr_count:     18
    .sgpr_spill_count: 0
    .symbol:         _Z20warp_exchange_kernelILj256ELj4ELj64EN6common25StripedToBlockedShuffleOpEoEvPT3_j.kd
    .uniform_work_group_size: 1
    .uses_dynamic_stack: false
    .vgpr_count:     37
    .vgpr_spill_count: 0
    .wavefront_size: 64
  - .agpr_count:     0
    .args:
      - .address_space:  global
        .offset:         0
        .size:           8
        .value_kind:     global_buffer
      - .offset:         8
        .size:           4
        .value_kind:     by_value
    .group_segment_fixed_size: 0
    .kernarg_segment_align: 8
    .kernarg_segment_size: 12
    .language:       OpenCL C
    .language_version:
      - 2
      - 0
    .max_flat_workgroup_size: 256
    .name:           _Z20warp_exchange_kernelILj256ELj16ELj64EN6common25StripedToBlockedShuffleOpEoEvPT3_j
    .private_segment_fixed_size: 528
    .sgpr_count:     10
    .sgpr_spill_count: 0
    .symbol:         _Z20warp_exchange_kernelILj256ELj16ELj64EN6common25StripedToBlockedShuffleOpEoEvPT3_j.kd
    .uniform_work_group_size: 1
    .uses_dynamic_stack: false
    .vgpr_count:     152
    .vgpr_spill_count: 0
    .wavefront_size: 64
  - .agpr_count:     0
    .args:
      - .address_space:  global
        .offset:         0
        .size:           8
        .value_kind:     global_buffer
      - .offset:         8
        .size:           4
        .value_kind:     by_value
    .group_segment_fixed_size: 4096
    .kernarg_segment_align: 8
    .kernarg_segment_size: 12
    .language:       OpenCL C
    .language_version:
      - 2
      - 0
    .max_flat_workgroup_size: 256
    .name:           _Z20warp_exchange_kernelILj256ELj1ELj64E18ScatterToStripedOpoEvPT3_j
    .private_segment_fixed_size: 0
    .sgpr_count:     10
    .sgpr_spill_count: 0
    .symbol:         _Z20warp_exchange_kernelILj256ELj1ELj64E18ScatterToStripedOpoEvPT3_j.kd
    .uniform_work_group_size: 1
    .uses_dynamic_stack: false
    .vgpr_count:     8
    .vgpr_spill_count: 0
    .wavefront_size: 64
  - .agpr_count:     0
    .args:
      - .address_space:  global
        .offset:         0
        .size:           8
        .value_kind:     global_buffer
      - .offset:         8
        .size:           4
        .value_kind:     by_value
    .group_segment_fixed_size: 16384
    .kernarg_segment_align: 8
    .kernarg_segment_size: 12
    .language:       OpenCL C
    .language_version:
      - 2
      - 0
    .max_flat_workgroup_size: 256
    .name:           _Z20warp_exchange_kernelILj256ELj4ELj64E18ScatterToStripedOpoEvPT3_j
    .private_segment_fixed_size: 0
    .sgpr_count:     10
    .sgpr_spill_count: 0
    .symbol:         _Z20warp_exchange_kernelILj256ELj4ELj64E18ScatterToStripedOpoEvPT3_j.kd
    .uniform_work_group_size: 1
    .uses_dynamic_stack: false
    .vgpr_count:     21
    .vgpr_spill_count: 0
    .wavefront_size: 64
  - .agpr_count:     0
    .args:
      - .address_space:  global
        .offset:         0
        .size:           8
        .value_kind:     global_buffer
      - .offset:         8
        .size:           4
        .value_kind:     by_value
    .group_segment_fixed_size: 65536
    .kernarg_segment_align: 8
    .kernarg_segment_size: 12
    .language:       OpenCL C
    .language_version:
      - 2
      - 0
    .max_flat_workgroup_size: 256
    .name:           _Z20warp_exchange_kernelILj256ELj16ELj64E18ScatterToStripedOpoEvPT3_j
    .private_segment_fixed_size: 0
    .sgpr_count:     10
    .sgpr_spill_count: 0
    .symbol:         _Z20warp_exchange_kernelILj256ELj16ELj64E18ScatterToStripedOpoEvPT3_j.kd
    .uniform_work_group_size: 1
    .uses_dynamic_stack: false
    .vgpr_count:     69
    .vgpr_spill_count: 0
    .wavefront_size: 64
amdhsa.target:   amdgcn-amd-amdhsa--gfx942
amdhsa.version:
  - 1
  - 2
...

	.end_amdgpu_metadata
